;; amdgpu-corpus repo=ROCm/rocFFT kind=compiled arch=gfx906 opt=O3
	.text
	.amdgcn_target "amdgcn-amd-amdhsa--gfx906"
	.amdhsa_code_object_version 6
	.protected	fft_rtc_fwd_len1925_factors_7_11_5_5_wgs_55_tpt_55_halfLds_dp_ip_CI_sbrr_dirReg ; -- Begin function fft_rtc_fwd_len1925_factors_7_11_5_5_wgs_55_tpt_55_halfLds_dp_ip_CI_sbrr_dirReg
	.globl	fft_rtc_fwd_len1925_factors_7_11_5_5_wgs_55_tpt_55_halfLds_dp_ip_CI_sbrr_dirReg
	.p2align	8
	.type	fft_rtc_fwd_len1925_factors_7_11_5_5_wgs_55_tpt_55_halfLds_dp_ip_CI_sbrr_dirReg,@function
fft_rtc_fwd_len1925_factors_7_11_5_5_wgs_55_tpt_55_halfLds_dp_ip_CI_sbrr_dirReg: ; @fft_rtc_fwd_len1925_factors_7_11_5_5_wgs_55_tpt_55_halfLds_dp_ip_CI_sbrr_dirReg
; %bb.0:
	s_load_dwordx2 s[14:15], s[4:5], 0x18
	s_load_dwordx4 s[8:11], s[4:5], 0x0
	s_load_dwordx2 s[12:13], s[4:5], 0x50
	s_mov_b64 s[42:43], s[2:3]
	s_mov_b64 s[40:41], s[0:1]
	s_waitcnt lgkmcnt(0)
	s_load_dwordx2 s[2:3], s[14:15], 0x0
	v_mul_u32_u24_e32 v1, 0x4a8, v0
	v_cmp_lt_u64_e64 s[0:1], s[10:11], 2
	s_add_u32 s40, s40, s7
	v_add_u32_sdwa v5, s6, v1 dst_sel:DWORD dst_unused:UNUSED_PAD src0_sel:DWORD src1_sel:WORD_1
	v_mov_b32_e32 v3, 0
	v_mov_b32_e32 v1, 0
	s_addc_u32 s41, s41, 0
	v_mov_b32_e32 v6, v3
	s_and_b64 vcc, exec, s[0:1]
	v_mov_b32_e32 v2, 0
	s_cbranch_vccnz .LBB0_8
; %bb.1:
	s_load_dwordx2 s[0:1], s[4:5], 0x10
	s_add_u32 s6, s14, 8
	s_addc_u32 s7, s15, 0
	v_mov_b32_e32 v1, 0
	v_mov_b32_e32 v2, 0
	s_waitcnt lgkmcnt(0)
	s_add_u32 s16, s0, 8
	s_addc_u32 s17, s1, 0
	s_mov_b64 s[18:19], 1
.LBB0_2:                                ; =>This Inner Loop Header: Depth=1
	s_load_dwordx2 s[20:21], s[16:17], 0x0
                                        ; implicit-def: $vgpr7_vgpr8
	s_waitcnt lgkmcnt(0)
	v_or_b32_e32 v4, s21, v6
	v_cmp_ne_u64_e32 vcc, 0, v[3:4]
	s_and_saveexec_b64 s[0:1], vcc
	s_xor_b64 s[22:23], exec, s[0:1]
	s_cbranch_execz .LBB0_4
; %bb.3:                                ;   in Loop: Header=BB0_2 Depth=1
	v_cvt_f32_u32_e32 v4, s20
	v_cvt_f32_u32_e32 v7, s21
	s_sub_u32 s0, 0, s20
	s_subb_u32 s1, 0, s21
	v_mac_f32_e32 v4, 0x4f800000, v7
	v_rcp_f32_e32 v4, v4
	v_mul_f32_e32 v4, 0x5f7ffffc, v4
	v_mul_f32_e32 v7, 0x2f800000, v4
	v_trunc_f32_e32 v7, v7
	v_mac_f32_e32 v4, 0xcf800000, v7
	v_cvt_u32_f32_e32 v7, v7
	v_cvt_u32_f32_e32 v4, v4
	v_mul_lo_u32 v8, s0, v7
	v_mul_hi_u32 v9, s0, v4
	v_mul_lo_u32 v11, s1, v4
	v_mul_lo_u32 v10, s0, v4
	v_add_u32_e32 v8, v9, v8
	v_add_u32_e32 v8, v8, v11
	v_mul_hi_u32 v9, v4, v10
	v_mul_lo_u32 v11, v4, v8
	v_mul_hi_u32 v13, v4, v8
	v_mul_hi_u32 v12, v7, v10
	v_mul_lo_u32 v10, v7, v10
	v_mul_hi_u32 v14, v7, v8
	v_add_co_u32_e32 v9, vcc, v9, v11
	v_addc_co_u32_e32 v11, vcc, 0, v13, vcc
	v_mul_lo_u32 v8, v7, v8
	v_add_co_u32_e32 v9, vcc, v9, v10
	v_addc_co_u32_e32 v9, vcc, v11, v12, vcc
	v_addc_co_u32_e32 v10, vcc, 0, v14, vcc
	v_add_co_u32_e32 v8, vcc, v9, v8
	v_addc_co_u32_e32 v9, vcc, 0, v10, vcc
	v_add_co_u32_e32 v4, vcc, v4, v8
	v_addc_co_u32_e32 v7, vcc, v7, v9, vcc
	v_mul_lo_u32 v8, s0, v7
	v_mul_hi_u32 v9, s0, v4
	v_mul_lo_u32 v10, s1, v4
	v_mul_lo_u32 v11, s0, v4
	v_add_u32_e32 v8, v9, v8
	v_add_u32_e32 v8, v8, v10
	v_mul_lo_u32 v12, v4, v8
	v_mul_hi_u32 v13, v4, v11
	v_mul_hi_u32 v14, v4, v8
	;; [unrolled: 1-line block ×3, first 2 shown]
	v_mul_lo_u32 v11, v7, v11
	v_mul_hi_u32 v9, v7, v8
	v_add_co_u32_e32 v12, vcc, v13, v12
	v_addc_co_u32_e32 v13, vcc, 0, v14, vcc
	v_mul_lo_u32 v8, v7, v8
	v_add_co_u32_e32 v11, vcc, v12, v11
	v_addc_co_u32_e32 v10, vcc, v13, v10, vcc
	v_addc_co_u32_e32 v9, vcc, 0, v9, vcc
	v_add_co_u32_e32 v8, vcc, v10, v8
	v_addc_co_u32_e32 v9, vcc, 0, v9, vcc
	v_add_co_u32_e32 v4, vcc, v4, v8
	v_addc_co_u32_e32 v9, vcc, v7, v9, vcc
	v_mad_u64_u32 v[7:8], s[0:1], v5, v9, 0
	v_mul_hi_u32 v10, v5, v4
	v_add_co_u32_e32 v11, vcc, v10, v7
	v_addc_co_u32_e32 v12, vcc, 0, v8, vcc
	v_mad_u64_u32 v[7:8], s[0:1], v6, v4, 0
	v_mad_u64_u32 v[9:10], s[0:1], v6, v9, 0
	v_add_co_u32_e32 v4, vcc, v11, v7
	v_addc_co_u32_e32 v4, vcc, v12, v8, vcc
	v_addc_co_u32_e32 v7, vcc, 0, v10, vcc
	v_add_co_u32_e32 v4, vcc, v4, v9
	v_addc_co_u32_e32 v9, vcc, 0, v7, vcc
	v_mul_lo_u32 v10, s21, v4
	v_mul_lo_u32 v11, s20, v9
	v_mad_u64_u32 v[7:8], s[0:1], s20, v4, 0
	v_add3_u32 v8, v8, v11, v10
	v_sub_u32_e32 v10, v6, v8
	v_mov_b32_e32 v11, s21
	v_sub_co_u32_e32 v7, vcc, v5, v7
	v_subb_co_u32_e64 v10, s[0:1], v10, v11, vcc
	v_subrev_co_u32_e64 v11, s[0:1], s20, v7
	v_subbrev_co_u32_e64 v10, s[0:1], 0, v10, s[0:1]
	v_cmp_le_u32_e64 s[0:1], s21, v10
	v_cndmask_b32_e64 v12, 0, -1, s[0:1]
	v_cmp_le_u32_e64 s[0:1], s20, v11
	v_cndmask_b32_e64 v11, 0, -1, s[0:1]
	v_cmp_eq_u32_e64 s[0:1], s21, v10
	v_cndmask_b32_e64 v10, v12, v11, s[0:1]
	v_add_co_u32_e64 v11, s[0:1], 2, v4
	v_addc_co_u32_e64 v12, s[0:1], 0, v9, s[0:1]
	v_add_co_u32_e64 v13, s[0:1], 1, v4
	v_addc_co_u32_e64 v14, s[0:1], 0, v9, s[0:1]
	v_subb_co_u32_e32 v8, vcc, v6, v8, vcc
	v_cmp_ne_u32_e64 s[0:1], 0, v10
	v_cmp_le_u32_e32 vcc, s21, v8
	v_cndmask_b32_e64 v10, v14, v12, s[0:1]
	v_cndmask_b32_e64 v12, 0, -1, vcc
	v_cmp_le_u32_e32 vcc, s20, v7
	v_cndmask_b32_e64 v7, 0, -1, vcc
	v_cmp_eq_u32_e32 vcc, s21, v8
	v_cndmask_b32_e32 v7, v12, v7, vcc
	v_cmp_ne_u32_e32 vcc, 0, v7
	v_cndmask_b32_e64 v7, v13, v11, s[0:1]
	v_cndmask_b32_e32 v8, v9, v10, vcc
	v_cndmask_b32_e32 v7, v4, v7, vcc
.LBB0_4:                                ;   in Loop: Header=BB0_2 Depth=1
	s_andn2_saveexec_b64 s[0:1], s[22:23]
	s_cbranch_execz .LBB0_6
; %bb.5:                                ;   in Loop: Header=BB0_2 Depth=1
	v_cvt_f32_u32_e32 v4, s20
	s_sub_i32 s22, 0, s20
	v_rcp_iflag_f32_e32 v4, v4
	v_mul_f32_e32 v4, 0x4f7ffffe, v4
	v_cvt_u32_f32_e32 v4, v4
	v_mul_lo_u32 v7, s22, v4
	v_mul_hi_u32 v7, v4, v7
	v_add_u32_e32 v4, v4, v7
	v_mul_hi_u32 v4, v5, v4
	v_mul_lo_u32 v7, v4, s20
	v_add_u32_e32 v8, 1, v4
	v_sub_u32_e32 v7, v5, v7
	v_subrev_u32_e32 v9, s20, v7
	v_cmp_le_u32_e32 vcc, s20, v7
	v_cndmask_b32_e32 v7, v7, v9, vcc
	v_cndmask_b32_e32 v4, v4, v8, vcc
	v_add_u32_e32 v8, 1, v4
	v_cmp_le_u32_e32 vcc, s20, v7
	v_cndmask_b32_e32 v7, v4, v8, vcc
	v_mov_b32_e32 v8, v3
.LBB0_6:                                ;   in Loop: Header=BB0_2 Depth=1
	s_or_b64 exec, exec, s[0:1]
	v_mul_lo_u32 v4, v8, s20
	v_mul_lo_u32 v11, v7, s21
	v_mad_u64_u32 v[9:10], s[0:1], v7, s20, 0
	s_load_dwordx2 s[0:1], s[6:7], 0x0
	s_add_u32 s18, s18, 1
	v_add3_u32 v4, v10, v11, v4
	v_sub_co_u32_e32 v5, vcc, v5, v9
	v_subb_co_u32_e32 v4, vcc, v6, v4, vcc
	s_waitcnt lgkmcnt(0)
	v_mul_lo_u32 v4, s0, v4
	v_mul_lo_u32 v6, s1, v5
	v_mad_u64_u32 v[1:2], s[0:1], s0, v5, v[1:2]
	s_addc_u32 s19, s19, 0
	s_add_u32 s6, s6, 8
	v_add3_u32 v2, v6, v2, v4
	v_mov_b32_e32 v4, s10
	v_mov_b32_e32 v5, s11
	s_addc_u32 s7, s7, 0
	v_cmp_ge_u64_e32 vcc, s[18:19], v[4:5]
	s_add_u32 s16, s16, 8
	s_addc_u32 s17, s17, 0
	s_cbranch_vccnz .LBB0_9
; %bb.7:                                ;   in Loop: Header=BB0_2 Depth=1
	v_mov_b32_e32 v5, v7
	v_mov_b32_e32 v6, v8
	s_branch .LBB0_2
.LBB0_8:
	v_mov_b32_e32 v8, v6
	v_mov_b32_e32 v7, v5
.LBB0_9:
	s_lshl_b64 s[0:1], s[10:11], 3
	s_add_u32 s0, s14, s0
	s_addc_u32 s1, s15, s1
	s_load_dwordx2 s[6:7], s[0:1], 0x0
	s_load_dwordx2 s[10:11], s[4:5], 0x20
                                        ; implicit-def: $vgpr226
                                        ; implicit-def: $vgpr225
                                        ; implicit-def: $vgpr229
                                        ; implicit-def: $vgpr227
	s_waitcnt lgkmcnt(0)
	v_mad_u64_u32 v[1:2], s[0:1], s6, v7, v[1:2]
	s_mov_b32 s0, 0x4a7904b
	v_mul_lo_u32 v3, s6, v8
	v_mul_lo_u32 v4, s7, v7
	v_mul_hi_u32 v5, v0, s0
	v_cmp_gt_u64_e32 vcc, s[10:11], v[7:8]
	v_cmp_le_u64_e64 s[0:1], s[10:11], v[7:8]
	v_add3_u32 v2, v4, v2, v3
	v_mul_u32_u24_e32 v3, 55, v5
	v_sub_u32_e32 v224, v0, v3
	s_and_saveexec_b64 s[4:5], s[0:1]
	s_xor_b64 s[0:1], exec, s[4:5]
; %bb.10:
	v_add_u32_e32 v226, 55, v224
	v_add_u32_e32 v225, 0x6e, v224
	;; [unrolled: 1-line block ×4, first 2 shown]
; %bb.11:
	s_or_saveexec_b64 s[4:5], s[0:1]
	v_lshlrev_b64 v[0:1], 4, v[1:2]
                                        ; implicit-def: $vgpr54_vgpr55
                                        ; implicit-def: $vgpr90_vgpr91
                                        ; implicit-def: $vgpr62_vgpr63
                                        ; implicit-def: $vgpr58_vgpr59
                                        ; implicit-def: $vgpr82_vgpr83
                                        ; implicit-def: $vgpr34_vgpr35
                                        ; implicit-def: $vgpr2_vgpr3
                                        ; implicit-def: $vgpr108_vgpr109
                                        ; implicit-def: $vgpr124_vgpr125
                                        ; implicit-def: $vgpr116_vgpr117
                                        ; implicit-def: $vgpr112_vgpr113
                                        ; implicit-def: $vgpr120_vgpr121
                                        ; implicit-def: $vgpr104_vgpr105
                                        ; implicit-def: $vgpr100_vgpr101
                                        ; implicit-def: $vgpr152_vgpr153
                                        ; implicit-def: $vgpr160_vgpr161
                                        ; implicit-def: $vgpr156_vgpr157
                                        ; implicit-def: $vgpr144_vgpr145
                                        ; implicit-def: $vgpr148_vgpr149
                                        ; implicit-def: $vgpr140_vgpr141
                                        ; implicit-def: $vgpr128_vgpr129
                                        ; implicit-def: $vgpr188_vgpr189
                                        ; implicit-def: $vgpr184_vgpr185
                                        ; implicit-def: $vgpr172_vgpr173
                                        ; implicit-def: $vgpr168_vgpr169
                                        ; implicit-def: $vgpr176_vgpr177
                                        ; implicit-def: $vgpr180_vgpr181
                                        ; implicit-def: $vgpr164_vgpr165
                                        ; implicit-def: $vgpr200_vgpr201
                                        ; implicit-def: $vgpr216_vgpr217
                                        ; implicit-def: $vgpr208_vgpr209
                                        ; implicit-def: $vgpr204_vgpr205
                                        ; implicit-def: $vgpr212_vgpr213
                                        ; implicit-def: $vgpr196_vgpr197
                                        ; implicit-def: $vgpr192_vgpr193
	buffer_store_dword v0, off, s[40:43], 0 ; 4-byte Folded Spill
	s_nop 0
	buffer_store_dword v1, off, s[40:43], 0 offset:4 ; 4-byte Folded Spill
	s_xor_b64 exec, exec, s[4:5]
	s_cbranch_execz .LBB0_13
; %bb.12:
	buffer_load_dword v6, off, s[40:43], 0  ; 4-byte Folded Reload
	buffer_load_dword v7, off, s[40:43], 0 offset:4 ; 4-byte Folded Reload
	v_mad_u64_u32 v[0:1], s[0:1], s2, v224, 0
	v_add_u32_e32 v5, 0x113, v224
	v_mov_b32_e32 v4, s13
	v_mad_u64_u32 v[1:2], s[0:1], s3, v224, v[1:2]
	v_mad_u64_u32 v[2:3], s[0:1], s2, v5, 0
	v_lshlrev_b64 v[0:1], 4, v[0:1]
	v_add_u32_e32 v8, 0x339, v224
	v_add_u32_e32 v10, 0x44c, v224
	;; [unrolled: 1-line block ×32, first 2 shown]
	v_mov_b32_e32 v226, v74
	s_waitcnt vmcnt(1)
	v_add_co_u32_e64 v30, s[0:1], s12, v6
	s_waitcnt vmcnt(0)
	v_addc_co_u32_e64 v31, s[0:1], v4, v7, s[0:1]
	v_mad_u64_u32 v[3:4], s[0:1], s3, v5, v[3:4]
	v_add_u32_e32 v6, 0x226, v224
	v_mad_u64_u32 v[4:5], s[0:1], s2, v6, 0
	v_add_co_u32_e64 v0, s[0:1], v30, v0
	v_addc_co_u32_e64 v1, s[0:1], v31, v1, s[0:1]
	v_mad_u64_u32 v[5:6], s[0:1], s3, v6, v[5:6]
	v_mad_u64_u32 v[6:7], s[0:1], s2, v8, 0
	v_lshlrev_b64 v[2:3], 4, v[2:3]
	v_lshlrev_b64 v[4:5], 4, v[4:5]
	v_add_co_u32_e64 v2, s[0:1], v30, v2
	v_addc_co_u32_e64 v3, s[0:1], v31, v3, s[0:1]
	v_mad_u64_u32 v[7:8], s[0:1], s3, v8, v[7:8]
	v_mad_u64_u32 v[8:9], s[0:1], s2, v10, 0
	v_add_co_u32_e64 v4, s[0:1], v30, v4
	v_addc_co_u32_e64 v5, s[0:1], v31, v5, s[0:1]
	v_mad_u64_u32 v[9:10], s[0:1], s3, v10, v[9:10]
	v_mad_u64_u32 v[10:11], s[0:1], s2, v12, 0
	v_lshlrev_b64 v[6:7], 4, v[6:7]
	v_lshlrev_b64 v[8:9], 4, v[8:9]
	v_add_co_u32_e64 v6, s[0:1], v30, v6
	v_addc_co_u32_e64 v7, s[0:1], v31, v7, s[0:1]
	v_mad_u64_u32 v[11:12], s[0:1], s3, v12, v[11:12]
	;; [unrolled: 10-line block ×6, first 2 shown]
	v_mad_u64_u32 v[28:29], s[0:1], s2, v225, 0
	v_add_co_u32_e64 v24, s[0:1], v30, v24
	v_addc_co_u32_e64 v25, s[0:1], v31, v25, s[0:1]
	v_mad_u64_u32 v[32:33], s[0:1], s3, v225, v[29:30]
	v_mad_u64_u32 v[33:34], s[0:1], s2, v35, 0
	v_lshlrev_b64 v[26:27], 4, v[26:27]
	v_mov_b32_e32 v29, v32
	v_add_co_u32_e64 v26, s[0:1], v30, v26
	v_mov_b32_e32 v32, v34
	v_addc_co_u32_e64 v27, s[0:1], v31, v27, s[0:1]
	v_mad_u64_u32 v[34:35], s[0:1], s3, v35, v[32:33]
	v_mad_u64_u32 v[35:36], s[0:1], s2, v37, 0
	v_lshlrev_b64 v[28:29], 4, v[28:29]
	v_lshlrev_b64 v[32:33], 4, v[33:34]
	v_add_co_u32_e64 v28, s[0:1], v30, v28
	v_mov_b32_e32 v34, v36
	v_addc_co_u32_e64 v29, s[0:1], v31, v29, s[0:1]
	v_mad_u64_u32 v[36:37], s[0:1], s3, v37, v[34:35]
	v_mad_u64_u32 v[37:38], s[0:1], s2, v39, 0
	v_add_co_u32_e64 v32, s[0:1], v30, v32
	v_lshlrev_b64 v[34:35], 4, v[35:36]
	v_mov_b32_e32 v36, v38
	v_addc_co_u32_e64 v33, s[0:1], v31, v33, s[0:1]
	v_mad_u64_u32 v[38:39], s[0:1], s3, v39, v[36:37]
	v_mad_u64_u32 v[39:40], s[0:1], s2, v41, 0
	v_add_co_u32_e64 v34, s[0:1], v30, v34
	v_lshlrev_b64 v[36:37], 4, v[37:38]
	;; [unrolled: 6-line block ×18, first 2 shown]
	v_mov_b32_e32 v70, v72
	v_addc_co_u32_e64 v67, s[0:1], v31, v67, s[0:1]
	v_mad_u64_u32 v[72:73], s[0:1], s3, v73, v[70:71]
	v_add_co_u32_e64 v68, s[0:1], v30, v68
	v_lshlrev_b64 v[70:71], 4, v[71:72]
	v_addc_co_u32_e64 v69, s[0:1], v31, v69, s[0:1]
	v_add_co_u32_e64 v30, s[0:1], v30, v70
	v_addc_co_u32_e64 v31, s[0:1], v31, v71, s[0:1]
	global_load_dwordx4 v[190:193], v[0:1], off
	global_load_dwordx4 v[194:197], v[2:3], off
	;; [unrolled: 1-line block ×12, first 2 shown]
                                        ; kill: killed $vgpr10 killed $vgpr11
                                        ; kill: killed $vgpr18 killed $vgpr19
                                        ; kill: killed $vgpr12 killed $vgpr13
                                        ; kill: killed $vgpr20 killed $vgpr21
                                        ; kill: killed $vgpr22 killed $vgpr23
                                        ; kill: killed $vgpr0 killed $vgpr1
                                        ; kill: killed $vgpr2 killed $vgpr3
                                        ; kill: killed $vgpr4 killed $vgpr5
                                        ; kill: killed $vgpr6 killed $vgpr7
                                        ; kill: killed $vgpr14 killed $vgpr15
                                        ; kill: killed $vgpr8 killed $vgpr9
                                        ; kill: killed $vgpr16 killed $vgpr17
	global_load_dwordx4 v[182:185], v[24:25], off
	global_load_dwordx4 v[186:189], v[26:27], off
	;; [unrolled: 1-line block ×6, first 2 shown]
                                        ; kill: killed $vgpr28 killed $vgpr29
                                        ; kill: killed $vgpr32 killed $vgpr33
                                        ; kill: killed $vgpr24 killed $vgpr25
                                        ; kill: killed $vgpr34 killed $vgpr35
                                        ; kill: killed $vgpr26 killed $vgpr27
                                        ; kill: killed $vgpr36 killed $vgpr37
	global_load_dwordx4 v[154:157], v[38:39], off
	global_load_dwordx4 v[158:161], v[40:41], off
	;; [unrolled: 1-line block ×3, first 2 shown]
                                        ; kill: killed $vgpr42 killed $vgpr43
                                        ; kill: killed $vgpr38 killed $vgpr39
                                        ; kill: killed $vgpr40 killed $vgpr41
	global_load_dwordx4 v[98:101], v[44:45], off
	global_load_dwordx4 v[102:105], v[46:47], off
                                        ; kill: killed $vgpr44 killed $vgpr45
                                        ; kill: killed $vgpr46 killed $vgpr47
	global_load_dwordx4 v[118:121], v[48:49], off
	global_load_dwordx4 v[110:113], v[50:51], off
	;; [unrolled: 1-line block ×8, first 2 shown]
	s_nop 0
	global_load_dwordx4 v[56:59], v[64:65], off
	global_load_dwordx4 v[60:63], v[66:67], off
	global_load_dwordx4 v[88:91], v[68:69], off
	global_load_dwordx4 v[52:55], v[30:31], off
.LBB0_13:
	s_or_b64 exec, exec, s[4:5]
	s_waitcnt vmcnt(28)
	v_add_f64 v[4:5], v[198:199], v[194:195]
	v_add_f64 v[6:7], v[214:215], v[210:211]
	;; [unrolled: 1-line block ×3, first 2 shown]
	v_add_f64 v[8:9], v[196:197], -v[200:201]
	v_add_f64 v[10:11], v[212:213], -v[216:217]
	;; [unrolled: 1-line block ×3, first 2 shown]
	s_mov_b32 s4, 0x37e14327
	s_mov_b32 s6, 0x36b3c0b5
	;; [unrolled: 1-line block ×3, first 2 shown]
	v_add_f64 v[16:17], v[6:7], v[4:5]
	v_add_f64 v[18:19], v[4:5], -v[12:13]
	s_mov_b32 s7, 0x3fac98ee
	v_add_f64 v[4:5], v[6:7], -v[4:5]
	v_add_f64 v[20:21], v[14:15], v[10:11]
	v_add_f64 v[22:23], v[14:15], -v[10:11]
	v_add_f64 v[10:11], v[10:11], -v[8:9]
	s_mov_b32 s14, 0xe976ee23
	v_add_f64 v[16:17], v[12:13], v[16:17]
	v_add_f64 v[12:13], v[12:13], -v[6:7]
	v_mul_f64 v[18:19], v[18:19], s[4:5]
	v_add_f64 v[6:7], v[8:9], -v[14:15]
	s_mov_b32 s10, 0x429ad128
	s_mov_b32 s16, 0xaaaaaaaa
	;; [unrolled: 1-line block ×4, first 2 shown]
	v_add_f64 v[24:25], v[190:191], v[16:17]
	v_mul_f64 v[14:15], v[12:13], s[6:7]
	s_mov_b32 s11, 0x3febfeb5
	s_mov_b32 s17, 0xbff2aaaa
	;; [unrolled: 1-line block ×5, first 2 shown]
	v_add_f64 v[8:9], v[20:21], v[8:9]
	v_mul_f64 v[20:21], v[22:23], s[14:15]
	v_mul_f64 v[22:23], v[10:11], s[10:11]
	v_fma_f64 v[12:13], v[12:13], s[6:7], v[18:19]
	v_fma_f64 v[16:17], v[16:17], s[16:17], v[24:25]
	v_fma_f64 v[14:15], v[4:5], s[18:19], -v[14:15]
	v_fma_f64 v[4:5], v[4:5], s[20:21], -v[18:19]
	s_mov_b32 s22, 0xb247c609
	s_mov_b32 s23, 0x3fd5d0dc
	;; [unrolled: 1-line block ×4, first 2 shown]
	v_fma_f64 v[18:19], v[6:7], s[22:23], v[20:21]
	v_fma_f64 v[10:11], v[10:11], s[10:11], -v[20:21]
	v_fma_f64 v[6:7], v[6:7], s[26:27], -v[22:23]
	v_add_f64 v[12:13], v[12:13], v[16:17]
	v_add_f64 v[14:15], v[14:15], v[16:17]
	;; [unrolled: 1-line block ×3, first 2 shown]
	s_waitcnt vmcnt(21)
	v_add_f64 v[16:17], v[186:187], v[178:179]
	v_add_f64 v[20:21], v[182:183], v[174:175]
	s_mov_b32 s24, 0x37c3f68c
	s_mov_b32 s25, 0x3fdc38aa
	v_fma_f64 v[18:19], v[8:9], s[24:25], v[18:19]
	v_fma_f64 v[6:7], v[8:9], s[24:25], v[6:7]
	;; [unrolled: 1-line block ×3, first 2 shown]
	v_add_f64 v[10:11], v[170:171], v[166:167]
	v_add_f64 v[36:37], v[176:177], -v[184:185]
	v_add_f64 v[22:23], v[20:21], v[16:17]
	v_add_f64 v[38:39], v[172:173], -v[168:169]
	s_waitcnt vmcnt(14)
	v_add_f64 v[44:45], v[150:151], v[138:139]
	v_add_f64 v[26:27], v[18:19], v[12:13]
	;; [unrolled: 1-line block ×3, first 2 shown]
	v_add_f64 v[30:31], v[14:15], -v[8:9]
	v_add_f64 v[8:9], v[8:9], v[14:15]
	v_add_f64 v[14:15], v[180:181], -v[188:189]
	v_add_f64 v[22:23], v[10:11], v[22:23]
	v_add_f64 v[40:41], v[16:17], -v[10:11]
	v_add_f64 v[10:11], v[10:11], -v[20:21]
	;; [unrolled: 1-line block ×4, first 2 shown]
	v_add_f64 v[12:13], v[38:39], v[36:37]
	v_add_f64 v[18:19], v[38:39], -v[36:37]
	v_add_f64 v[36:37], v[36:37], -v[14:15]
	v_add_f64 v[42:43], v[162:163], v[22:23]
	v_mul_f64 v[40:41], v[40:41], s[4:5]
	v_add_f64 v[16:17], v[20:21], -v[16:17]
	v_add_f64 v[20:21], v[14:15], -v[38:39]
	v_mul_f64 v[38:39], v[10:11], s[6:7]
	v_add_f64 v[12:13], v[12:13], v[14:15]
	v_mul_f64 v[14:15], v[18:19], s[14:15]
	v_mul_f64 v[18:19], v[36:37], s[10:11]
	v_fma_f64 v[22:23], v[22:23], s[16:17], v[42:43]
	v_fma_f64 v[10:11], v[10:11], s[6:7], v[40:41]
	v_add_f64 v[46:47], v[158:159], v[146:147]
	v_add_f64 v[48:49], v[156:157], -v[144:145]
	v_fma_f64 v[38:39], v[16:17], s[18:19], -v[38:39]
	v_fma_f64 v[16:17], v[16:17], s[20:21], -v[40:41]
	v_fma_f64 v[40:41], v[20:21], s[22:23], v[14:15]
	v_fma_f64 v[14:15], v[36:37], s[10:11], -v[14:15]
	v_fma_f64 v[18:19], v[20:21], s[26:27], -v[18:19]
	v_add_f64 v[10:11], v[10:11], v[22:23]
	v_add_f64 v[20:21], v[154:155], v[142:143]
	;; [unrolled: 1-line block ×5, first 2 shown]
	v_add_f64 v[22:23], v[148:149], -v[160:161]
	v_add_f64 v[50:51], v[140:141], -v[152:153]
	v_fma_f64 v[40:41], v[12:13], s[24:25], v[40:41]
	v_fma_f64 v[14:15], v[12:13], s[24:25], v[14:15]
	v_add_f64 v[64:65], v[44:45], -v[20:21]
	v_add_f64 v[36:37], v[20:21], v[36:37]
	v_add_f64 v[20:21], v[20:21], -v[46:47]
	v_fma_f64 v[12:13], v[12:13], s[24:25], v[18:19]
	v_add_f64 v[18:19], v[48:49], -v[22:23]
	v_add_f64 v[66:67], v[22:23], -v[50:51]
	;; [unrolled: 1-line block ×3, first 2 shown]
	v_add_f64 v[22:23], v[48:49], v[22:23]
	v_mul_f64 v[64:65], v[64:65], s[4:5]
	v_add_f64 v[46:47], v[126:127], v[36:37]
	v_mul_f64 v[68:69], v[20:21], s[6:7]
	v_add_f64 v[48:49], v[50:51], -v[48:49]
	v_mul_f64 v[18:19], v[18:19], s[14:15]
	v_mul_f64 v[70:71], v[66:67], s[10:11]
	v_add_f64 v[72:73], v[40:41], v[10:11]
	v_add_f64 v[22:23], v[22:23], v[50:51]
	v_fma_f64 v[20:21], v[20:21], s[6:7], v[64:65]
	v_fma_f64 v[36:37], v[36:37], s[16:17], v[46:47]
	v_fma_f64 v[50:51], v[44:45], s[18:19], -v[68:69]
	v_fma_f64 v[44:45], v[44:45], s[20:21], -v[64:65]
	v_fma_f64 v[64:65], v[48:49], s[22:23], v[18:19]
	v_fma_f64 v[18:19], v[66:67], s[10:11], -v[18:19]
	v_fma_f64 v[48:49], v[48:49], s[26:27], -v[70:71]
	s_waitcnt vmcnt(8)
	v_add_f64 v[66:67], v[122:123], v[118:119]
	v_add_f64 v[70:71], v[38:39], -v[14:15]
	v_add_f64 v[20:21], v[20:21], v[36:37]
	v_add_f64 v[50:51], v[50:51], v[36:37]
	;; [unrolled: 1-line block ×3, first 2 shown]
	v_fma_f64 v[44:45], v[22:23], s[24:25], v[64:65]
	s_waitcnt vmcnt(7)
	v_add_f64 v[64:65], v[106:107], v[102:103]
	v_fma_f64 v[18:19], v[22:23], s[24:25], v[18:19]
	v_fma_f64 v[48:49], v[22:23], s[24:25], v[48:49]
	v_add_f64 v[14:15], v[14:15], v[38:39]
	v_add_f64 v[10:11], v[10:11], -v[40:41]
	v_add_f64 v[38:39], v[114:115], v[110:111]
	v_add_f64 v[76:77], v[120:121], -v[124:125]
	v_add_f64 v[78:79], v[116:117], -v[112:113]
	v_add_f64 v[40:41], v[66:67], v[64:65]
	v_add_f64 v[74:75], v[50:51], -v[18:19]
	v_add_f64 v[18:19], v[18:19], v[50:51]
	;; [unrolled: 2-line block ×4, first 2 shown]
	v_add_f64 v[22:23], v[48:49], v[36:37]
	v_add_f64 v[36:37], v[36:37], -v[48:49]
	v_add_f64 v[44:45], v[20:21], -v[44:45]
	v_add_f64 v[20:21], v[38:39], v[40:41]
	v_add_f64 v[40:41], v[64:65], -v[38:39]
	v_add_f64 v[38:39], v[38:39], -v[66:67]
	;; [unrolled: 3-line block ×3, first 2 shown]
	v_add_f64 v[64:65], v[66:67], -v[64:65]
	v_add_f64 v[66:67], v[50:51], -v[78:79]
	v_add_f64 v[78:79], v[98:99], v[20:21]
	v_mul_f64 v[40:41], v[40:41], s[4:5]
	v_mul_f64 v[86:87], v[38:39], s[6:7]
	v_add_f64 v[48:49], v[48:49], v[50:51]
	v_mul_f64 v[50:51], v[84:85], s[14:15]
	v_mul_f64 v[84:85], v[76:77], s[10:11]
	s_waitcnt vmcnt(0)
	v_add_f64 v[92:93], v[52:53], v[32:33]
	v_add_f64 v[94:95], v[88:89], v[80:81]
	v_fma_f64 v[20:21], v[20:21], s[16:17], v[78:79]
	v_fma_f64 v[38:39], v[38:39], s[6:7], v[40:41]
	v_fma_f64 v[86:87], v[64:65], s[18:19], -v[86:87]
	v_fma_f64 v[40:41], v[64:65], s[20:21], -v[40:41]
	v_fma_f64 v[64:65], v[66:67], s[22:23], v[50:51]
	v_fma_f64 v[50:51], v[76:77], s[10:11], -v[50:51]
	v_add_f64 v[76:77], v[60:61], v[56:57]
	v_add_f64 v[96:97], v[94:95], v[92:93]
	v_fma_f64 v[66:67], v[66:67], s[26:27], -v[84:85]
	v_add_f64 v[84:85], v[82:83], -v[90:91]
	v_add_f64 v[98:99], v[62:63], -v[58:59]
	;; [unrolled: 1-line block ×3, first 2 shown]
	v_add_f64 v[38:39], v[38:39], v[20:21]
	v_add_f64 v[86:87], v[86:87], v[20:21]
	;; [unrolled: 1-line block ×4, first 2 shown]
	v_add_f64 v[96:97], v[92:93], -v[76:77]
	v_add_f64 v[76:77], v[76:77], -v[94:95]
	;; [unrolled: 1-line block ×5, first 2 shown]
	v_add_f64 v[84:85], v[98:99], v[84:85]
	v_add_f64 v[98:99], v[126:127], -v[98:99]
	v_add_f64 v[94:95], v[0:1], v[40:41]
	v_mul_f64 v[0:1], v[96:97], s[4:5]
	v_mul_f64 v[96:97], v[76:77], s[6:7]
	;; [unrolled: 1-line block ×4, first 2 shown]
	v_fma_f64 v[64:65], v[48:49], s[24:25], v[64:65]
	v_add_f64 v[84:85], v[84:85], v[126:127]
	v_fma_f64 v[50:51], v[48:49], s[24:25], v[50:51]
	v_fma_f64 v[40:41], v[40:41], s[16:17], v[94:95]
	;; [unrolled: 1-line block ×3, first 2 shown]
	v_fma_f64 v[96:97], v[92:93], s[18:19], -v[96:97]
	v_fma_f64 v[0:1], v[92:93], s[20:21], -v[0:1]
	v_fma_f64 v[92:93], v[98:99], s[22:23], v[130:131]
	v_fma_f64 v[98:99], v[98:99], s[26:27], -v[134:135]
	v_fma_f64 v[126:127], v[132:133], s[10:11], -v[130:131]
	v_fma_f64 v[48:49], v[48:49], s[24:25], v[66:67]
	v_add_f64 v[66:67], v[64:65], v[38:39]
	v_add_f64 v[76:77], v[76:77], v[40:41]
	;; [unrolled: 1-line block ×4, first 2 shown]
	v_fma_f64 v[40:41], v[84:85], s[24:25], v[92:93]
	v_fma_f64 v[92:93], v[84:85], s[24:25], v[98:99]
	;; [unrolled: 1-line block ×3, first 2 shown]
	v_add_f64 v[38:39], v[38:39], -v[64:65]
	v_add_f64 v[98:99], v[48:49], v[20:21]
	v_add_f64 v[130:131], v[86:87], -v[50:51]
	v_add_f64 v[50:51], v[50:51], v[86:87]
	;; [unrolled: 2-line block ×3, first 2 shown]
	v_add_f64 v[86:87], v[92:93], v[0:1]
	v_add_f64 v[132:133], v[96:97], -v[84:85]
	v_add_f64 v[84:85], v[84:85], v[96:97]
	v_add_f64 v[162:163], v[0:1], -v[92:93]
	v_add_f64 v[20:21], v[76:77], -v[40:41]
	v_mad_u32_u24 v0, v224, 56, 0
	s_movk_i32 s30, 0xffd0
	v_mad_i32_i24 v230, v224, s30, v0
	ds_write2_b64 v0, v[24:25], v[26:27] offset1:1
	ds_write2_b64 v0, v[28:29], v[30:31] offset0:2 offset1:3
	ds_write2_b64 v0, v[8:9], v[4:5] offset0:4 offset1:5
	ds_write_b64 v0, v[6:7] offset:48
	v_mad_i32_i24 v126, v226, 56, 0
	v_mad_i32_i24 v231, v225, 56, 0
	;; [unrolled: 1-line block ×4, first 2 shown]
	v_add_u32_e32 v232, 0x800, v230
	v_add_u32_e32 v235, 0xc00, v230
	;; [unrolled: 1-line block ×9, first 2 shown]
	ds_write2_b64 v126, v[42:43], v[72:73] offset1:1
	ds_write2_b64 v126, v[68:69], v[70:71] offset0:2 offset1:3
	ds_write2_b64 v126, v[14:15], v[12:13] offset0:4 offset1:5
	ds_write_b64 v126, v[10:11] offset:48
	ds_write2_b64 v231, v[46:47], v[16:17] offset1:1
	ds_write2_b64 v231, v[22:23], v[74:75] offset0:2 offset1:3
	ds_write2_b64 v231, v[18:19], v[36:37] offset0:4 offset1:5
	ds_write_b64 v231, v[44:45] offset:48
	;; [unrolled: 4-line block ×4, first 2 shown]
	s_waitcnt lgkmcnt(0)
	; wave barrier
	s_waitcnt lgkmcnt(0)
	ds_read2_b64 v[4:7], v230 offset1:175
	ds_read2_b64 v[134:137], v232 offset0:94 offset1:149
	ds_read2_b64 v[68:71], v235 offset0:76 offset1:141
	;; [unrolled: 1-line block ×12, first 2 shown]
	ds_read2_b64 v[44:47], v234 offset1:55
	v_add_u32_e32 v240, 0x3000, v230
	v_mad_i32_i24 v9, v225, s30, v231
	v_mad_i32_i24 v8, v226, s30, v126
	ds_read2_b64 v[28:31], v240 offset0:94 offset1:149
	ds_read_b64 v[190:191], v9
	ds_read_b64 v[220:221], v8
	ds_read_b64 v[222:223], v230 offset:14880
	v_mul_i32_i24_e32 v243, 56, v227
	v_mul_i32_i24_e32 v242, 0xffffffd0, v226
	;; [unrolled: 1-line block ×3, first 2 shown]
	v_cmp_gt_u32_e64 s[0:1], 10, v224
                                        ; implicit-def: $vgpr10_vgpr11
                                        ; implicit-def: $vgpr14_vgpr15
                                        ; implicit-def: $vgpr18_vgpr19
                                        ; implicit-def: $vgpr26_vgpr27
	s_and_saveexec_b64 s[28:29], s[0:1]
	s_cbranch_execz .LBB0_15
; %bb.14:
	v_mad_i32_i24 v8, v229, s30, v1
	ds_read_b64 v[162:163], v8
	v_add_u32_e32 v8, 0xa00, v230
	ds_read2_b64 v[20:23], v8 offset0:20 offset1:195
	v_add_u32_e32 v8, 0x1400, v230
	ds_read2_b64 v[24:27], v8 offset0:50 offset1:225
	ds_read2_b64 v[16:19], v236 offset0:16 offset1:191
	v_add_u32_e32 v8, 0x2a00, v230
	ds_read2_b64 v[12:15], v8 offset0:46 offset1:221
	ds_read2_b64 v[8:11], v238 offset0:76 offset1:251
.LBB0_15:
	s_or_b64 exec, exec, s[28:29]
	v_add_f64 v[196:197], v[200:201], v[196:197]
	v_add_f64 v[200:201], v[216:217], v[212:213]
	v_add_f64 v[210:211], v[210:211], -v[214:215]
	v_add_f64 v[204:205], v[208:209], v[204:205]
	v_add_f64 v[202:203], v[206:207], -v[202:203]
	v_add_f64 v[194:195], v[194:195], -v[198:199]
	v_add_f64 v[180:181], v[188:189], v[180:181]
	v_add_f64 v[176:177], v[184:185], v[176:177]
	;; [unrolled: 1-line block ×4, first 2 shown]
	v_add_f64 v[174:175], v[174:175], -v[182:183]
	v_add_f64 v[206:207], v[196:197], -v[204:205]
	v_add_f64 v[208:209], v[202:203], -v[210:211]
	v_add_f64 v[188:189], v[210:211], -v[194:195]
	v_add_f64 v[210:211], v[202:203], v[210:211]
	v_add_f64 v[202:203], v[194:195], -v[202:203]
	v_add_f64 v[196:197], v[200:201], -v[196:197]
	v_add_f64 v[198:199], v[204:205], v[198:199]
	v_add_f64 v[204:205], v[204:205], -v[200:201]
	v_mul_f64 v[206:207], v[206:207], s[4:5]
	v_mul_f64 v[208:209], v[208:209], s[14:15]
	;; [unrolled: 1-line block ×3, first 2 shown]
	v_add_f64 v[194:195], v[210:211], v[194:195]
	v_add_f64 v[172:173], v[176:177], v[180:181]
	v_add_f64 v[166:167], v[170:171], -v[166:167]
	v_add_f64 v[192:193], v[192:193], v[198:199]
	v_mul_f64 v[200:201], v[204:205], s[6:7]
	v_fma_f64 v[204:205], v[204:205], s[6:7], v[206:207]
	v_fma_f64 v[210:211], v[202:203], s[22:23], v[208:209]
	v_fma_f64 v[188:189], v[188:189], s[10:11], -v[208:209]
	v_fma_f64 v[184:185], v[202:203], s[26:27], -v[184:185]
	;; [unrolled: 1-line block ×3, first 2 shown]
	v_add_f64 v[178:179], v[178:179], -v[186:187]
	v_fma_f64 v[198:199], v[198:199], s[16:17], v[192:193]
	v_fma_f64 v[196:197], v[196:197], s[18:19], -v[200:201]
	v_add_f64 v[170:171], v[180:181], -v[168:169]
	v_fma_f64 v[200:201], v[194:195], s[24:25], v[210:211]
	v_fma_f64 v[188:189], v[194:195], s[24:25], v[188:189]
	;; [unrolled: 1-line block ×3, first 2 shown]
	v_add_f64 v[172:173], v[168:169], v[172:173]
	v_add_f64 v[168:169], v[168:169], -v[176:177]
	v_add_f64 v[194:195], v[204:205], v[198:199]
	v_add_f64 v[196:197], v[196:197], v[198:199]
	;; [unrolled: 1-line block ×3, first 2 shown]
	v_mul_f64 v[170:171], v[170:171], s[4:5]
	v_add_f64 v[176:177], v[176:177], -v[180:181]
	v_add_f64 v[140:141], v[152:153], v[140:141]
	v_add_f64 v[164:165], v[164:165], v[172:173]
	v_mul_f64 v[180:181], v[168:169], s[6:7]
	v_add_f64 v[182:183], v[194:195], -v[200:201]
	v_add_f64 v[198:199], v[188:189], v[196:197]
	v_add_f64 v[188:189], v[196:197], -v[188:189]
	v_add_f64 v[194:195], v[200:201], v[194:195]
	v_add_f64 v[196:197], v[166:167], v[174:175]
	v_add_f64 v[200:201], v[166:167], -v[174:175]
	v_add_f64 v[174:175], v[174:175], -v[178:179]
	;; [unrolled: 1-line block ×3, first 2 shown]
	v_add_f64 v[148:149], v[160:161], v[148:149]
	v_fma_f64 v[172:173], v[172:173], s[16:17], v[164:165]
	v_fma_f64 v[168:169], v[168:169], s[6:7], v[170:171]
	v_fma_f64 v[152:153], v[176:177], s[18:19], -v[180:181]
	v_add_f64 v[178:179], v[196:197], v[178:179]
	v_mul_f64 v[196:197], v[200:201], s[14:15]
	v_fma_f64 v[160:161], v[176:177], s[20:21], -v[170:171]
	v_add_f64 v[144:145], v[156:157], v[144:145]
	v_add_f64 v[156:157], v[148:149], v[140:141]
	v_add_f64 v[146:147], v[146:147], -v[158:159]
	v_add_f64 v[142:143], v[154:155], -v[142:143]
	v_add_f64 v[138:139], v[138:139], -v[150:151]
	v_mul_f64 v[200:201], v[174:175], s[10:11]
	v_fma_f64 v[170:171], v[166:167], s[22:23], v[196:197]
	v_fma_f64 v[174:175], v[174:175], s[10:11], -v[196:197]
	v_add_f64 v[168:169], v[168:169], v[172:173]
	v_add_f64 v[152:153], v[152:153], v[172:173]
	;; [unrolled: 1-line block ×4, first 2 shown]
	v_add_f64 v[158:159], v[140:141], -v[144:145]
	v_add_f64 v[144:145], v[144:145], -v[148:149]
	v_fma_f64 v[150:151], v[178:179], s[24:25], v[170:171]
	v_add_f64 v[170:171], v[142:143], -v[146:147]
	v_add_f64 v[172:173], v[146:147], -v[138:139]
	v_fma_f64 v[154:155], v[178:179], s[24:25], v[174:175]
	v_add_f64 v[140:141], v[148:149], -v[140:141]
	v_add_f64 v[146:147], v[142:143], v[146:147]
	v_add_f64 v[148:149], v[128:129], v[156:157]
	v_mul_f64 v[128:129], v[158:159], s[4:5]
	v_mul_f64 v[158:159], v[144:145], s[6:7]
	v_add_f64 v[142:143], v[138:139], -v[142:143]
	v_mul_f64 v[170:171], v[170:171], s[14:15]
	v_mul_f64 v[174:175], v[172:173], s[10:11]
	v_add_f64 v[104:105], v[108:109], v[104:105]
	v_add_f64 v[108:109], v[124:125], v[120:121]
	;; [unrolled: 1-line block ×3, first 2 shown]
	v_fma_f64 v[146:147], v[156:157], s[16:17], v[148:149]
	v_fma_f64 v[144:145], v[144:145], s[6:7], v[128:129]
	v_fma_f64 v[156:157], v[140:141], s[18:19], -v[158:159]
	v_fma_f64 v[128:129], v[140:141], s[20:21], -v[128:129]
	v_fma_f64 v[140:141], v[142:143], s[22:23], v[170:171]
	v_fma_f64 v[142:143], v[142:143], s[26:27], -v[174:175]
	v_fma_f64 v[170:171], v[172:173], s[10:11], -v[170:171]
	v_add_f64 v[112:113], v[116:117], v[112:113]
	v_add_f64 v[116:117], v[108:109], v[104:105]
	;; [unrolled: 1-line block ×5, first 2 shown]
	v_fma_f64 v[140:141], v[138:139], s[24:25], v[140:141]
	v_fma_f64 v[142:143], v[138:139], s[24:25], v[142:143]
	;; [unrolled: 1-line block ×3, first 2 shown]
	v_add_f64 v[118:119], v[118:119], -v[122:123]
	v_add_f64 v[110:111], v[114:115], -v[110:111]
	;; [unrolled: 1-line block ×3, first 2 shown]
	v_add_f64 v[116:117], v[112:113], v[116:117]
	v_add_f64 v[122:123], v[104:105], -v[112:113]
	v_add_f64 v[112:113], v[112:113], -v[108:109]
	v_add_f64 v[176:177], v[168:169], -v[150:151]
	v_add_f64 v[174:175], v[154:155], v[152:153]
	v_add_f64 v[124:125], v[152:153], -v[154:155]
	v_add_f64 v[146:147], v[150:151], v[168:169]
	v_add_f64 v[150:151], v[144:145], -v[140:141]
	v_add_f64 v[152:153], v[128:129], -v[142:143]
	v_add_f64 v[154:155], v[120:121], v[156:157]
	v_add_f64 v[114:115], v[156:157], -v[120:121]
	v_add_f64 v[106:107], v[142:143], v[128:129]
	v_add_f64 v[120:121], v[140:141], v[144:145]
	;; [unrolled: 1-line block ×3, first 2 shown]
	v_add_f64 v[140:141], v[110:111], -v[118:119]
	v_add_f64 v[104:105], v[108:109], -v[104:105]
	;; [unrolled: 1-line block ×3, first 2 shown]
	v_add_f64 v[100:101], v[100:101], v[116:117]
	v_mul_f64 v[110:111], v[122:123], s[4:5]
	v_mul_f64 v[122:123], v[112:113], s[6:7]
	v_add_f64 v[34:35], v[54:55], v[34:35]
	v_add_f64 v[54:55], v[90:91], v[82:83]
	v_add_f64 v[118:119], v[118:119], -v[102:103]
	v_add_f64 v[102:103], v[128:129], v[102:103]
	v_mul_f64 v[128:129], v[140:141], s[14:15]
	v_fma_f64 v[82:83], v[116:117], s[16:17], v[100:101]
	v_fma_f64 v[90:91], v[112:113], s[6:7], v[110:111]
	v_fma_f64 v[112:113], v[104:105], s[18:19], -v[122:123]
	v_fma_f64 v[104:105], v[104:105], s[20:21], -v[110:111]
	v_add_f64 v[58:59], v[62:63], v[58:59]
	v_add_f64 v[62:63], v[54:55], v[34:35]
	v_add_f64 v[80:81], v[80:81], -v[88:89]
	v_add_f64 v[56:57], v[60:61], -v[56:57]
	v_fma_f64 v[110:111], v[108:109], s[22:23], v[128:129]
	v_add_f64 v[32:33], v[32:33], -v[52:53]
	v_add_f64 v[90:91], v[90:91], v[82:83]
	v_add_f64 v[52:53], v[112:113], v[82:83]
	;; [unrolled: 1-line block ×4, first 2 shown]
	v_add_f64 v[82:83], v[34:35], -v[58:59]
	v_add_f64 v[58:59], v[58:59], -v[54:55]
	;; [unrolled: 1-line block ×3, first 2 shown]
	v_fma_f64 v[88:89], v[102:103], s[24:25], v[110:111]
	v_add_f64 v[110:111], v[80:81], -v[32:33]
	v_add_f64 v[34:35], v[54:55], -v[34:35]
	v_add_f64 v[54:55], v[56:57], v[80:81]
	v_add_f64 v[2:3], v[2:3], v[62:63]
	v_mul_f64 v[80:81], v[82:83], s[4:5]
	v_mul_f64 v[82:83], v[58:59], s[6:7]
	v_add_f64 v[56:57], v[32:33], -v[56:57]
	v_mul_f64 v[104:105], v[104:105], s[14:15]
	v_mul_f64 v[112:113], v[110:111], s[10:11]
	;; [unrolled: 1-line block ×3, first 2 shown]
	v_add_f64 v[32:33], v[54:55], v[32:33]
	v_fma_f64 v[54:55], v[62:63], s[16:17], v[2:3]
	v_fma_f64 v[58:59], v[58:59], s[6:7], v[80:81]
	v_fma_f64 v[62:63], v[34:35], s[18:19], -v[82:83]
	v_fma_f64 v[34:35], v[34:35], s[20:21], -v[80:81]
	v_fma_f64 v[80:81], v[56:57], s[22:23], v[104:105]
	v_fma_f64 v[56:57], v[56:57], s[26:27], -v[112:113]
	v_fma_f64 v[82:83], v[110:111], s[10:11], -v[104:105]
	;; [unrolled: 1-line block ×5, first 2 shown]
	v_add_f64 v[58:59], v[58:59], v[54:55]
	v_add_f64 v[62:63], v[62:63], v[54:55]
	;; [unrolled: 1-line block ×3, first 2 shown]
	v_fma_f64 v[54:55], v[32:33], s[24:25], v[80:81]
	v_fma_f64 v[56:57], v[32:33], s[24:25], v[56:57]
	;; [unrolled: 1-line block ×6, first 2 shown]
	v_add_f64 v[186:187], v[202:203], -v[184:185]
	v_add_f64 v[104:105], v[90:91], -v[88:89]
	v_add_f64 v[88:89], v[88:89], v[90:91]
	v_add_f64 v[90:91], v[58:59], -v[54:55]
	v_add_f64 v[184:185], v[184:185], v[202:203]
	;; [unrolled: 2-line block ×5, first 2 shown]
	v_add_f64 v[60:61], v[54:55], v[58:59]
	v_add_f64 v[158:159], v[160:161], -v[166:167]
	v_add_f64 v[138:139], v[166:167], v[160:161]
	v_add_f64 v[82:83], v[116:117], v[52:53]
	v_add_f64 v[52:53], v[52:53], -v[116:117]
	s_waitcnt lgkmcnt(0)
	; wave barrier
	s_waitcnt lgkmcnt(0)
	ds_write2_b64 v0, v[192:193], v[182:183] offset1:1
	ds_write2_b64 v0, v[186:187], v[198:199] offset0:2 offset1:3
	ds_write2_b64 v0, v[188:189], v[184:185] offset0:4 offset1:5
	ds_write_b64 v0, v[194:195] offset:48
	ds_write2_b64 v126, v[164:165], v[176:177] offset1:1
	ds_write2_b64 v126, v[158:159], v[174:175] offset0:2 offset1:3
	ds_write2_b64 v126, v[124:125], v[138:139] offset0:4 offset1:5
	ds_write_b64 v126, v[146:147] offset:48
	;; [unrolled: 4-line block ×4, first 2 shown]
	v_add_u32_e32 v0, 0, v243
	ds_write2_b64 v0, v[2:3], v[90:91] offset1:1
	ds_write2_b64 v0, v[108:109], v[110:111] offset0:2 offset1:3
	ds_write2_b64 v0, v[32:33], v[128:129] offset0:4 offset1:5
	ds_write_b64 v0, v[60:61] offset:48
	s_waitcnt lgkmcnt(0)
	; wave barrier
	s_waitcnt lgkmcnt(0)
	ds_read2_b64 v[0:3], v230 offset1:175
	ds_read2_b64 v[158:161], v232 offset0:94 offset1:149
	ds_read2_b64 v[120:123], v235 offset0:76 offset1:141
	;; [unrolled: 1-line block ×9, first 2 shown]
	v_add_u32_e32 v232, v126, v242
	ds_read2_b64 v[138:141], v239 offset0:102 offset1:157
	ds_read2_b64 v[124:127], v127 offset0:68 offset1:123
	;; [unrolled: 1-line block ×3, first 2 shown]
	ds_read2_b64 v[108:111], v234 offset1:55
	ds_read2_b64 v[88:91], v240 offset0:94 offset1:149
	v_add_u32_e32 v231, v231, v241
	ds_read_b64 v[164:165], v231
	ds_read_b64 v[166:167], v232
	ds_read_b64 v[182:183], v230 offset:14880
	v_lshl_add_u32 v228, v229, 3, 0
                                        ; implicit-def: $vgpr34_vgpr35
                                        ; implicit-def: $vgpr54_vgpr55
                                        ; implicit-def: $vgpr58_vgpr59
                                        ; implicit-def: $vgpr82_vgpr83
	s_and_saveexec_b64 s[4:5], s[0:1]
	s_cbranch_execz .LBB0_17
; %bb.16:
	v_add_u32_e32 v32, 0xa00, v230
	ds_read2_b64 v[60:63], v32 offset0:20 offset1:195
	v_add_u32_e32 v32, 0x1400, v230
	ds_read2_b64 v[80:83], v32 offset0:50 offset1:225
	;; [unrolled: 2-line block ×4, first 2 shown]
	v_add_u32_e32 v32, 0x3400, v230
	ds_read_b64 v[128:129], v228
	ds_read2_b64 v[32:35], v32 offset0:76 offset1:251
.LBB0_17:
	s_or_b64 exec, exec, s[4:5]
	v_mov_b32_e32 v184, 37
	v_mul_lo_u16_sdwa v168, v224, v184 dst_sel:DWORD dst_unused:UNUSED_PAD src0_sel:BYTE_0 src1_sel:DWORD
	v_sub_u16_sdwa v169, v224, v168 dst_sel:DWORD dst_unused:UNUSED_PAD src0_sel:DWORD src1_sel:BYTE_1
	v_lshrrev_b16_e32 v169, 1, v169
	v_and_b32_e32 v169, 0x7f, v169
	v_add_u16_sdwa v168, v169, v168 dst_sel:DWORD dst_unused:UNUSED_PAD src0_sel:DWORD src1_sel:BYTE_1
	v_lshrrev_b16_e32 v234, 2, v168
	v_mul_lo_u16_e32 v168, 7, v234
	v_sub_u16_e32 v235, v224, v168
	v_mov_b32_e32 v185, 10
	v_mul_u32_u24_sdwa v168, v235, v185 dst_sel:DWORD dst_unused:UNUSED_PAD src0_sel:BYTE_0 src1_sel:DWORD
	v_lshlrev_b32_e32 v200, 4, v168
	global_load_dwordx4 v[178:181], v200, s[8:9] offset:48
	global_load_dwordx4 v[186:189], v200, s[8:9] offset:32
	;; [unrolled: 1-line block ×3, first 2 shown]
	global_load_dwordx4 v[192:195], v200, s[8:9]
	s_mov_b32 s10, 0xf8bb580b
	s_mov_b32 s26, 0x8eee2c13
	;; [unrolled: 1-line block ×28, first 2 shown]
	s_waitcnt vmcnt(0) lgkmcnt(14)
	v_mul_f64 v[172:173], v[2:3], v[194:195]
	v_fma_f64 v[174:175], v[6:7], v[192:193], -v[172:173]
	v_mul_f64 v[6:7], v[6:7], v[194:195]
	v_fma_f64 v[176:177], v[2:3], v[192:193], v[6:7]
	v_mul_f64 v[2:3], v[158:159], v[170:171]
	v_fma_f64 v[172:173], v[134:135], v[168:169], -v[2:3]
	v_mul_f64 v[2:3], v[134:135], v[170:171]
	v_fma_f64 v[168:169], v[158:159], v[168:169], v[2:3]
	v_mul_f64 v[2:3], v[122:123], v[188:189]
	v_fma_f64 v[170:171], v[70:71], v[186:187], -v[2:3]
	v_mul_f64 v[2:3], v[70:71], v[188:189]
	v_fma_f64 v[158:159], v[122:123], v[186:187], v[2:3]
	v_mul_f64 v[2:3], v[154:155], v[180:181]
	v_fma_f64 v[134:135], v[130:131], v[178:179], -v[2:3]
	v_mul_f64 v[2:3], v[130:131], v[180:181]
	v_fma_f64 v[122:123], v[154:155], v[178:179], v[2:3]
	global_load_dwordx4 v[178:181], v200, s[8:9] offset:112
	global_load_dwordx4 v[186:189], v200, s[8:9] offset:96
	;; [unrolled: 1-line block ×4, first 2 shown]
	s_waitcnt vmcnt(1) lgkmcnt(12)
	v_mul_f64 v[6:7], v[150:151], v[194:195]
	s_waitcnt vmcnt(0)
	v_mul_f64 v[2:3], v[118:119], v[198:199]
	v_fma_f64 v[70:71], v[66:67], v[196:197], -v[2:3]
	v_mul_f64 v[2:3], v[66:67], v[198:199]
	v_fma_f64 v[66:67], v[96:97], v[192:193], -v[6:7]
	v_mul_f64 v[6:7], v[96:97], v[194:195]
	s_waitcnt lgkmcnt(11)
	v_mul_f64 v[96:97], v[106:107], v[188:189]
	v_fma_f64 v[2:3], v[118:119], v[196:197], v[2:3]
	v_fma_f64 v[6:7], v[150:151], v[192:193], v[6:7]
	v_fma_f64 v[96:97], v[42:43], v[186:187], -v[96:97]
	v_mul_f64 v[42:43], v[42:43], v[188:189]
	v_fma_f64 v[42:43], v[106:107], v[186:187], v[42:43]
	s_waitcnt lgkmcnt(10)
	v_mul_f64 v[106:107], v[146:147], v[180:181]
	v_fma_f64 v[150:151], v[92:93], v[178:179], -v[106:107]
	v_mul_f64 v[92:93], v[92:93], v[180:181]
	v_fma_f64 v[118:119], v[146:147], v[178:179], v[92:93]
	global_load_dwordx4 v[186:189], v200, s[8:9] offset:144
	global_load_dwordx4 v[178:181], v200, s[8:9] offset:128
	s_waitcnt vmcnt(0) lgkmcnt(9)
	v_mul_f64 v[92:93], v[102:103], v[180:181]
	v_fma_f64 v[146:147], v[38:39], v[178:179], -v[92:93]
	v_mul_f64 v[38:39], v[38:39], v[180:181]
	v_fma_f64 v[106:107], v[102:103], v[178:179], v[38:39]
	s_waitcnt lgkmcnt(8)
	v_mul_f64 v[38:39], v[142:143], v[188:189]
	v_fma_f64 v[178:179], v[84:85], v[186:187], -v[38:39]
	v_mul_f64 v[38:39], v[84:85], v[188:189]
	v_fma_f64 v[102:103], v[142:143], v[186:187], v[38:39]
	v_mul_lo_u16_sdwa v38, v226, v184 dst_sel:DWORD dst_unused:UNUSED_PAD src0_sel:BYTE_0 src1_sel:DWORD
	v_sub_u16_sdwa v39, v226, v38 dst_sel:DWORD dst_unused:UNUSED_PAD src0_sel:DWORD src1_sel:BYTE_1
	v_lshrrev_b16_e32 v39, 1, v39
	v_and_b32_e32 v39, 0x7f, v39
	v_add_u16_sdwa v38, v39, v38 dst_sel:DWORD dst_unused:UNUSED_PAD src0_sel:DWORD src1_sel:BYTE_1
	v_lshrrev_b16_e32 v236, 2, v38
	v_mul_lo_u16_e32 v38, 7, v236
	v_sub_u16_e32 v237, v226, v38
	v_mul_u32_u24_sdwa v38, v237, v185 dst_sel:DWORD dst_unused:UNUSED_PAD src0_sel:BYTE_0 src1_sel:DWORD
	v_lshlrev_b32_e32 v180, 4, v38
	global_load_dwordx4 v[186:189], v180, s[8:9] offset:48
	global_load_dwordx4 v[192:195], v180, s[8:9] offset:32
	;; [unrolled: 1-line block ×3, first 2 shown]
	global_load_dwordx4 v[200:203], v180, s[8:9]
	s_waitcnt vmcnt(0) lgkmcnt(7)
	v_mul_f64 v[38:39], v[138:139], v[202:203]
	v_fma_f64 v[154:155], v[76:77], v[200:201], -v[38:39]
	v_mul_f64 v[38:39], v[76:77], v[202:203]
	v_fma_f64 v[142:143], v[138:139], v[200:201], v[38:39]
	v_mul_f64 v[38:39], v[160:161], v[198:199]
	v_fma_f64 v[138:139], v[136:137], v[196:197], -v[38:39]
	v_mul_f64 v[38:39], v[136:137], v[198:199]
	v_fma_f64 v[136:137], v[160:161], v[196:197], v[38:39]
	s_waitcnt lgkmcnt(6)
	v_mul_f64 v[38:39], v[124:125], v[194:195]
	v_fma_f64 v[130:131], v[72:73], v[192:193], -v[38:39]
	v_mul_f64 v[38:39], v[72:73], v[194:195]
	v_fma_f64 v[124:125], v[124:125], v[192:193], v[38:39]
	v_mul_f64 v[38:39], v[156:157], v[188:189]
	v_fma_f64 v[72:73], v[132:133], v[186:187], -v[38:39]
	v_mul_f64 v[38:39], v[132:133], v[188:189]
	v_fma_f64 v[38:39], v[156:157], v[186:187], v[38:39]
	global_load_dwordx4 v[186:189], v180, s[8:9] offset:112
	global_load_dwordx4 v[192:195], v180, s[8:9] offset:96
	;; [unrolled: 1-line block ×4, first 2 shown]
	s_waitcnt vmcnt(0) lgkmcnt(5)
	v_mul_f64 v[76:77], v[112:113], v[202:203]
	v_fma_f64 v[84:85], v[48:49], v[200:201], -v[76:77]
	v_mul_f64 v[76:77], v[152:153], v[198:199]
	v_mul_f64 v[48:49], v[48:49], v[202:203]
	v_fma_f64 v[92:93], v[98:99], v[196:197], -v[76:77]
	v_mul_f64 v[76:77], v[98:99], v[198:199]
	s_waitcnt lgkmcnt(4)
	v_mul_f64 v[98:99], v[108:109], v[194:195]
	v_fma_f64 v[48:49], v[112:113], v[200:201], v[48:49]
	v_fma_f64 v[76:77], v[152:153], v[196:197], v[76:77]
	v_fma_f64 v[112:113], v[44:45], v[192:193], -v[98:99]
	v_mul_f64 v[44:45], v[44:45], v[194:195]
	v_fma_f64 v[98:99], v[108:109], v[192:193], v[44:45]
	v_mul_f64 v[44:45], v[148:149], v[188:189]
	v_fma_f64 v[108:109], v[94:95], v[186:187], -v[44:45]
	v_mul_f64 v[44:45], v[94:95], v[188:189]
	v_fma_f64 v[94:95], v[148:149], v[186:187], v[44:45]
	global_load_dwordx4 v[186:189], v180, s[8:9] offset:144
	global_load_dwordx4 v[192:195], v180, s[8:9] offset:128
	s_waitcnt vmcnt(0) lgkmcnt(3)
	v_mul_f64 v[44:45], v[88:89], v[194:195]
	v_fma_f64 v[152:153], v[28:29], v[192:193], -v[44:45]
	v_mul_f64 v[28:29], v[28:29], v[194:195]
	v_fma_f64 v[148:149], v[88:89], v[192:193], v[28:29]
	v_mul_f64 v[28:29], v[144:145], v[188:189]
	v_fma_f64 v[180:181], v[86:87], v[186:187], -v[28:29]
	v_mul_f64 v[28:29], v[86:87], v[188:189]
	v_fma_f64 v[156:157], v[144:145], v[186:187], v[28:29]
	v_mul_lo_u16_sdwa v28, v225, v184 dst_sel:DWORD dst_unused:UNUSED_PAD src0_sel:BYTE_0 src1_sel:DWORD
	v_sub_u16_sdwa v29, v225, v28 dst_sel:DWORD dst_unused:UNUSED_PAD src0_sel:DWORD src1_sel:BYTE_1
	v_lshrrev_b16_e32 v29, 1, v29
	v_and_b32_e32 v29, 0x7f, v29
	v_add_u16_sdwa v28, v29, v28 dst_sel:DWORD dst_unused:UNUSED_PAD src0_sel:DWORD src1_sel:BYTE_1
	v_lshrrev_b16_e32 v238, 2, v28
	v_mul_lo_u16_e32 v28, 7, v238
	v_sub_u16_e32 v239, v225, v28
	v_mul_u32_u24_sdwa v28, v239, v185 dst_sel:DWORD dst_unused:UNUSED_PAD src0_sel:BYTE_0 src1_sel:DWORD
	v_lshlrev_b32_e32 v160, 4, v28
	global_load_dwordx4 v[186:189], v160, s[8:9] offset:48
	global_load_dwordx4 v[192:195], v160, s[8:9] offset:32
	;; [unrolled: 1-line block ×3, first 2 shown]
	global_load_dwordx4 v[86:89], v160, s[8:9]
	s_waitcnt vmcnt(0)
	v_mul_f64 v[28:29], v[140:141], v[88:89]
	v_fma_f64 v[144:145], v[78:79], v[86:87], -v[28:29]
	v_mul_f64 v[28:29], v[78:79], v[88:89]
	v_fma_f64 v[132:133], v[140:141], v[86:87], v[28:29]
	v_mul_f64 v[28:29], v[120:121], v[198:199]
	v_fma_f64 v[88:89], v[68:69], v[196:197], -v[28:29]
	v_mul_f64 v[28:29], v[68:69], v[198:199]
	v_fma_f64 v[86:87], v[120:121], v[196:197], v[28:29]
	;; [unrolled: 4-line block ×4, first 2 shown]
	global_load_dwordx4 v[186:189], v160, s[8:9] offset:112
	global_load_dwordx4 v[192:195], v160, s[8:9] offset:96
	;; [unrolled: 1-line block ×4, first 2 shown]
	s_waitcnt vmcnt(1)
	v_mul_f64 v[74:75], v[104:105], v[198:199]
	s_waitcnt vmcnt(0)
	v_mul_f64 v[64:65], v[114:115], v[202:203]
	v_fma_f64 v[64:65], v[50:51], v[200:201], -v[64:65]
	v_mul_f64 v[50:51], v[50:51], v[202:203]
	v_fma_f64 v[50:51], v[114:115], v[200:201], v[50:51]
	v_fma_f64 v[114:115], v[40:41], v[196:197], -v[74:75]
	v_mul_f64 v[40:41], v[40:41], v[198:199]
	v_mul_f64 v[74:75], v[110:111], v[194:195]
	v_fma_f64 v[40:41], v[104:105], v[196:197], v[40:41]
	v_fma_f64 v[104:105], v[46:47], v[192:193], -v[74:75]
	v_mul_f64 v[74:75], v[100:101], v[188:189]
	v_mul_f64 v[46:47], v[46:47], v[194:195]
	v_fma_f64 v[140:141], v[36:37], v[186:187], -v[74:75]
	v_mul_f64 v[36:37], v[36:37], v[188:189]
	v_fma_f64 v[46:47], v[110:111], v[192:193], v[46:47]
	v_fma_f64 v[36:37], v[100:101], v[186:187], v[36:37]
	global_load_dwordx4 v[186:189], v160, s[8:9] offset:144
	global_load_dwordx4 v[194:197], v160, s[8:9] offset:128
	s_waitcnt vmcnt(0)
	v_mul_f64 v[74:75], v[90:91], v[196:197]
	v_fma_f64 v[192:193], v[30:31], v[194:195], -v[74:75]
	s_waitcnt lgkmcnt(0)
	v_mul_f64 v[74:75], v[182:183], v[188:189]
	v_mul_f64 v[30:31], v[30:31], v[196:197]
	v_fma_f64 v[196:197], v[222:223], v[186:187], -v[74:75]
	v_mul_f64 v[74:75], v[222:223], v[188:189]
	v_fma_f64 v[30:31], v[90:91], v[194:195], v[30:31]
	v_fma_f64 v[194:195], v[182:183], v[186:187], v[74:75]
	v_mul_lo_u16_sdwa v74, v229, v184 dst_sel:DWORD dst_unused:UNUSED_PAD src0_sel:BYTE_0 src1_sel:DWORD
	v_sub_u16_sdwa v75, v229, v74 dst_sel:DWORD dst_unused:UNUSED_PAD src0_sel:DWORD src1_sel:BYTE_1
	v_lshrrev_b16_e32 v75, 1, v75
	v_and_b32_e32 v75, 0x7f, v75
	v_add_u16_sdwa v74, v75, v74 dst_sel:DWORD dst_unused:UNUSED_PAD src0_sel:DWORD src1_sel:BYTE_1
	v_lshrrev_b16_e32 v222, 2, v74
	v_mul_lo_u16_e32 v74, 7, v222
	v_sub_u16_e32 v223, v229, v74
	v_mul_u32_u24_sdwa v74, v223, v185 dst_sel:DWORD dst_unused:UNUSED_PAD src0_sel:BYTE_0 src1_sel:DWORD
	v_lshlrev_b32_e32 v210, 4, v74
	global_load_dwordx4 v[186:189], v210, s[8:9] offset:48
	global_load_dwordx4 v[198:201], v210, s[8:9] offset:32
	;; [unrolled: 1-line block ×3, first 2 shown]
	global_load_dwordx4 v[206:209], v210, s[8:9]
	s_waitcnt vmcnt(0)
	v_mul_f64 v[74:75], v[60:61], v[208:209]
	v_fma_f64 v[182:183], v[20:21], v[206:207], -v[74:75]
	v_mul_f64 v[20:21], v[20:21], v[208:209]
	v_fma_f64 v[184:185], v[60:61], v[206:207], v[20:21]
	v_mul_f64 v[20:21], v[62:63], v[204:205]
	v_fma_f64 v[116:117], v[22:23], v[202:203], -v[20:21]
	v_mul_f64 v[20:21], v[22:23], v[204:205]
	v_fma_f64 v[120:121], v[62:63], v[202:203], v[20:21]
	;; [unrolled: 4-line block ×3, first 2 shown]
	buffer_store_dword v20, off, s[40:43], 0 offset:24 ; 4-byte Folded Spill
	s_nop 0
	buffer_store_dword v21, off, s[40:43], 0 offset:28 ; 4-byte Folded Spill
	v_mul_f64 v[20:21], v[82:83], v[188:189]
	v_fma_f64 v[20:21], v[26:27], v[186:187], -v[20:21]
	buffer_store_dword v20, off, s[40:43], 0 offset:16 ; 4-byte Folded Spill
	s_nop 0
	buffer_store_dword v21, off, s[40:43], 0 offset:20 ; 4-byte Folded Spill
	v_mul_f64 v[20:21], v[26:27], v[188:189]
	v_fma_f64 v[20:21], v[82:83], v[186:187], v[20:21]
	buffer_store_dword v20, off, s[40:43], 0 offset:8 ; 4-byte Folded Spill
	s_nop 0
	buffer_store_dword v21, off, s[40:43], 0 offset:12 ; 4-byte Folded Spill
	global_load_dwordx4 v[20:23], v210, s[8:9] offset:112
	s_nop 0
	global_load_dwordx4 v[24:27], v210, s[8:9] offset:96
	global_load_dwordx4 v[186:189], v210, s[8:9] offset:80
	;; [unrolled: 1-line block ×3, first 2 shown]
	s_waitcnt vmcnt(0)
	v_mul_f64 v[100:101], v[56:57], v[82:83]
	v_fma_f64 v[100:101], v[16:17], v[80:81], -v[100:101]
	v_mul_f64 v[16:17], v[16:17], v[82:83]
	v_fma_f64 v[80:81], v[56:57], v[80:81], v[16:17]
	v_mul_f64 v[16:17], v[58:59], v[188:189]
	v_add_f64 v[56:57], v[2:3], -v[6:7]
	v_fma_f64 v[110:111], v[18:19], v[186:187], -v[16:17]
	v_mul_f64 v[16:17], v[18:19], v[188:189]
	v_fma_f64 v[82:83], v[58:59], v[186:187], v[16:17]
	v_mul_f64 v[16:17], v[52:53], v[26:27]
	v_fma_f64 v[160:161], v[12:13], v[24:25], -v[16:17]
	v_mul_f64 v[12:13], v[12:13], v[26:27]
	v_fma_f64 v[126:127], v[52:53], v[24:25], v[12:13]
	v_mul_f64 v[12:13], v[54:55], v[22:23]
	v_fma_f64 v[188:189], v[14:15], v[20:21], -v[12:13]
	v_mul_f64 v[12:13], v[14:15], v[22:23]
	v_fma_f64 v[186:187], v[54:55], v[20:21], v[12:13]
	global_load_dwordx4 v[12:15], v210, s[8:9] offset:144
	global_load_dwordx4 v[16:19], v210, s[8:9] offset:128
	s_waitcnt lgkmcnt(0)
	; wave barrier
	s_waitcnt vmcnt(0)
	v_mul_f64 v[20:21], v[32:33], v[18:19]
	v_fma_f64 v[202:203], v[8:9], v[16:17], -v[20:21]
	v_mul_f64 v[8:9], v[8:9], v[18:19]
	v_fma_f64 v[200:201], v[32:33], v[16:17], v[8:9]
	v_mul_f64 v[8:9], v[34:35], v[14:15]
	v_fma_f64 v[204:205], v[10:11], v[12:13], -v[8:9]
	v_mul_f64 v[8:9], v[10:11], v[14:15]
	v_add_f64 v[10:11], v[174:175], v[178:179]
	v_fma_f64 v[198:199], v[34:35], v[12:13], v[8:9]
	v_add_f64 v[12:13], v[176:177], -v[102:103]
	v_add_f64 v[8:9], v[4:5], v[174:175]
	v_mul_f64 v[14:15], v[12:13], s[10:11]
	v_mul_f64 v[18:19], v[12:13], s[26:27]
	;; [unrolled: 1-line block ×5, first 2 shown]
	v_add_f64 v[8:9], v[8:9], v[172:173]
	v_fma_f64 v[16:17], v[10:11], s[4:5], -v[14:15]
	v_fma_f64 v[14:15], v[10:11], s[4:5], v[14:15]
	v_fma_f64 v[20:21], v[10:11], s[6:7], -v[18:19]
	v_fma_f64 v[18:19], v[10:11], s[6:7], v[18:19]
	;; [unrolled: 2-line block ×5, first 2 shown]
	v_add_f64 v[12:13], v[168:169], -v[106:107]
	v_add_f64 v[16:17], v[4:5], v[16:17]
	v_add_f64 v[14:15], v[4:5], v[14:15]
	;; [unrolled: 1-line block ×11, first 2 shown]
	v_mul_f64 v[52:53], v[12:13], s[26:27]
	v_add_f64 v[8:9], v[8:9], v[170:171]
	v_fma_f64 v[54:55], v[10:11], s[6:7], -v[52:53]
	v_fma_f64 v[52:53], v[10:11], s[6:7], v[52:53]
	v_add_f64 v[8:9], v[8:9], v[134:135]
	v_add_f64 v[16:17], v[54:55], v[16:17]
	v_add_f64 v[14:15], v[52:53], v[14:15]
	v_mul_f64 v[52:53], v[12:13], s[20:21]
	v_add_f64 v[8:9], v[8:9], v[70:71]
	v_fma_f64 v[54:55], v[10:11], s[18:19], -v[52:53]
	v_fma_f64 v[52:53], v[10:11], s[18:19], v[52:53]
	v_add_f64 v[8:9], v[8:9], v[66:67]
	v_add_f64 v[20:21], v[54:55], v[20:21]
	v_add_f64 v[18:19], v[52:53], v[18:19]
	;; [unrolled: 7-line block ×3, first 2 shown]
	v_mul_f64 v[52:53], v[12:13], s[30:31]
	v_mul_f64 v[12:13], v[12:13], s[28:29]
	v_add_f64 v[8:9], v[8:9], v[146:147]
	v_fma_f64 v[54:55], v[10:11], s[16:17], -v[52:53]
	v_fma_f64 v[52:53], v[10:11], s[16:17], v[52:53]
	v_add_f64 v[8:9], v[8:9], v[178:179]
	v_add_f64 v[32:33], v[54:55], v[32:33]
	;; [unrolled: 1-line block ×3, first 2 shown]
	v_fma_f64 v[52:53], v[10:11], s[4:5], -v[12:13]
	v_fma_f64 v[10:11], v[10:11], s[4:5], v[12:13]
	v_add_f64 v[12:13], v[158:159], -v[118:119]
	v_add_f64 v[34:35], v[52:53], v[34:35]
	v_add_f64 v[4:5], v[10:11], v[4:5]
	;; [unrolled: 1-line block ×3, first 2 shown]
	v_mul_f64 v[52:53], v[12:13], s[14:15]
	v_fma_f64 v[54:55], v[10:11], s[16:17], -v[52:53]
	v_fma_f64 v[52:53], v[10:11], s[16:17], v[52:53]
	v_add_f64 v[16:17], v[54:55], v[16:17]
	v_add_f64 v[14:15], v[52:53], v[14:15]
	v_mul_f64 v[52:53], v[12:13], s[34:35]
	v_fma_f64 v[54:55], v[10:11], s[22:23], -v[52:53]
	v_fma_f64 v[52:53], v[10:11], s[22:23], v[52:53]
	v_add_f64 v[20:21], v[54:55], v[20:21]
	v_add_f64 v[18:19], v[52:53], v[18:19]
	;; [unrolled: 5-line block ×3, first 2 shown]
	v_mul_f64 v[52:53], v[12:13], s[10:11]
	v_mul_f64 v[12:13], v[12:13], s[20:21]
	v_fma_f64 v[54:55], v[10:11], s[4:5], -v[52:53]
	v_fma_f64 v[52:53], v[10:11], s[4:5], v[52:53]
	v_add_f64 v[32:33], v[54:55], v[32:33]
	v_add_f64 v[26:27], v[52:53], v[26:27]
	v_fma_f64 v[52:53], v[10:11], s[18:19], -v[12:13]
	v_fma_f64 v[10:11], v[10:11], s[18:19], v[12:13]
	v_add_f64 v[12:13], v[122:123], -v[42:43]
	v_add_f64 v[34:35], v[52:53], v[34:35]
	v_add_f64 v[4:5], v[10:11], v[4:5]
	;; [unrolled: 1-line block ×3, first 2 shown]
	v_mul_f64 v[52:53], v[12:13], s[20:21]
	v_fma_f64 v[54:55], v[10:11], s[18:19], -v[52:53]
	v_fma_f64 v[52:53], v[10:11], s[18:19], v[52:53]
	v_add_f64 v[16:17], v[54:55], v[16:17]
	v_add_f64 v[14:15], v[52:53], v[14:15]
	v_mul_f64 v[52:53], v[12:13], s[30:31]
	v_fma_f64 v[54:55], v[10:11], s[16:17], -v[52:53]
	v_fma_f64 v[52:53], v[10:11], s[16:17], v[52:53]
	v_add_f64 v[20:21], v[54:55], v[20:21]
	v_add_f64 v[18:19], v[52:53], v[18:19]
	;; [unrolled: 5-line block ×3, first 2 shown]
	v_mul_f64 v[52:53], v[12:13], s[24:25]
	v_mul_f64 v[12:13], v[12:13], s[36:37]
	v_fma_f64 v[54:55], v[10:11], s[22:23], -v[52:53]
	v_fma_f64 v[52:53], v[10:11], s[22:23], v[52:53]
	v_add_f64 v[32:33], v[54:55], v[32:33]
	v_add_f64 v[26:27], v[52:53], v[26:27]
	v_fma_f64 v[52:53], v[10:11], s[6:7], -v[12:13]
	v_fma_f64 v[10:11], v[10:11], s[6:7], v[12:13]
	v_add_f64 v[54:55], v[70:71], v[66:67]
	v_mul_f64 v[12:13], v[56:57], s[28:29]
	v_add_f64 v[34:35], v[52:53], v[34:35]
	v_add_f64 v[52:53], v[10:11], v[4:5]
	v_mul_f64 v[4:5], v[56:57], s[24:25]
	v_fma_f64 v[10:11], v[54:55], s[22:23], -v[4:5]
	v_fma_f64 v[4:5], v[54:55], s[22:23], v[4:5]
	v_add_f64 v[10:11], v[10:11], v[16:17]
	v_add_f64 v[4:5], v[4:5], v[14:15]
	v_fma_f64 v[14:15], v[54:55], s[4:5], -v[12:13]
	v_fma_f64 v[12:13], v[54:55], s[4:5], v[12:13]
	v_mul_f64 v[16:17], v[56:57], s[20:21]
	v_add_f64 v[14:15], v[14:15], v[20:21]
	v_add_f64 v[12:13], v[12:13], v[18:19]
	v_fma_f64 v[18:19], v[54:55], s[18:19], -v[16:17]
	v_fma_f64 v[16:17], v[54:55], s[18:19], v[16:17]
	v_add_f64 v[18:19], v[18:19], v[24:25]
	v_add_f64 v[16:17], v[16:17], v[22:23]
	v_mul_f64 v[22:23], v[56:57], s[36:37]
	v_fma_f64 v[20:21], v[54:55], s[6:7], -v[22:23]
	v_fma_f64 v[22:23], v[54:55], s[6:7], v[22:23]
	v_add_f64 v[20:21], v[20:21], v[32:33]
	v_add_f64 v[22:23], v[22:23], v[26:27]
	v_mul_f64 v[26:27], v[56:57], s[14:15]
	v_add_f64 v[32:33], v[220:221], v[154:155]
	v_fma_f64 v[24:25], v[54:55], s[16:17], -v[26:27]
	v_fma_f64 v[26:27], v[54:55], s[16:17], v[26:27]
	v_add_f64 v[32:33], v[32:33], v[138:139]
	v_add_f64 v[24:25], v[24:25], v[34:35]
	;; [unrolled: 1-line block ×3, first 2 shown]
	v_add_f64 v[52:53], v[142:143], -v[156:157]
	v_add_f64 v[34:35], v[154:155], v[180:181]
	v_add_f64 v[32:33], v[32:33], v[130:131]
	v_mul_f64 v[54:55], v[52:53], s[10:11]
	v_mul_f64 v[58:59], v[52:53], s[26:27]
	v_mul_f64 v[208:209], v[52:53], s[14:15]
	v_mul_f64 v[212:213], v[52:53], s[20:21]
	v_mul_f64 v[52:53], v[52:53], s[24:25]
	v_add_f64 v[32:33], v[32:33], v[72:73]
	v_fma_f64 v[56:57], v[34:35], s[4:5], -v[54:55]
	v_fma_f64 v[54:55], v[34:35], s[4:5], v[54:55]
	v_fma_f64 v[206:207], v[34:35], s[6:7], -v[58:59]
	v_fma_f64 v[58:59], v[34:35], s[6:7], v[58:59]
	;; [unrolled: 2-line block ×5, first 2 shown]
	v_add_f64 v[56:57], v[220:221], v[56:57]
	v_add_f64 v[54:55], v[220:221], v[54:55]
	;; [unrolled: 1-line block ×10, first 2 shown]
	v_add_f64 v[220:221], v[136:137], -v[148:149]
	v_add_f64 v[52:53], v[138:139], v[152:153]
	v_add_f64 v[32:33], v[32:33], v[84:85]
	v_mul_f64 v[240:241], v[220:221], s[26:27]
	v_add_f64 v[32:33], v[32:33], v[92:93]
	v_fma_f64 v[242:243], v[52:53], s[6:7], -v[240:241]
	v_fma_f64 v[240:241], v[52:53], s[6:7], v[240:241]
	v_add_f64 v[32:33], v[32:33], v[112:113]
	v_add_f64 v[56:57], v[242:243], v[56:57]
	v_add_f64 v[54:55], v[240:241], v[54:55]
	v_mul_f64 v[240:241], v[220:221], s[20:21]
	v_add_f64 v[32:33], v[32:33], v[108:109]
	v_fma_f64 v[242:243], v[52:53], s[18:19], -v[240:241]
	v_fma_f64 v[240:241], v[52:53], s[18:19], v[240:241]
	v_add_f64 v[32:33], v[32:33], v[152:153]
	;; [unrolled: 7-line block ×3, first 2 shown]
	v_add_f64 v[208:209], v[240:241], v[208:209]
	v_mul_f64 v[240:241], v[220:221], s[30:31]
	v_mul_f64 v[220:221], v[220:221], s[28:29]
	v_fma_f64 v[242:243], v[52:53], s[16:17], -v[240:241]
	v_fma_f64 v[240:241], v[52:53], s[16:17], v[240:241]
	v_add_f64 v[214:215], v[242:243], v[214:215]
	v_add_f64 v[212:213], v[240:241], v[212:213]
	v_fma_f64 v[240:241], v[52:53], s[4:5], -v[220:221]
	v_fma_f64 v[52:53], v[52:53], s[4:5], v[220:221]
	v_add_f64 v[220:221], v[124:125], -v[94:95]
	v_add_f64 v[216:217], v[240:241], v[216:217]
	v_add_f64 v[34:35], v[52:53], v[34:35]
	v_add_f64 v[52:53], v[130:131], v[108:109]
	v_mul_f64 v[240:241], v[220:221], s[14:15]
	v_fma_f64 v[242:243], v[52:53], s[16:17], -v[240:241]
	v_fma_f64 v[240:241], v[52:53], s[16:17], v[240:241]
	v_add_f64 v[56:57], v[242:243], v[56:57]
	v_add_f64 v[54:55], v[240:241], v[54:55]
	v_mul_f64 v[240:241], v[220:221], s[34:35]
	v_fma_f64 v[242:243], v[52:53], s[22:23], -v[240:241]
	v_fma_f64 v[240:241], v[52:53], s[22:23], v[240:241]
	v_add_f64 v[206:207], v[242:243], v[206:207]
	v_add_f64 v[58:59], v[240:241], v[58:59]
	v_mul_f64 v[240:241], v[220:221], s[36:37]
	v_fma_f64 v[242:243], v[52:53], s[6:7], -v[240:241]
	v_fma_f64 v[240:241], v[52:53], s[6:7], v[240:241]
	v_add_f64 v[210:211], v[242:243], v[210:211]
	v_add_f64 v[208:209], v[240:241], v[208:209]
	v_mul_f64 v[240:241], v[220:221], s[10:11]
	v_mul_f64 v[220:221], v[220:221], s[20:21]
	v_fma_f64 v[242:243], v[52:53], s[4:5], -v[240:241]
	v_fma_f64 v[240:241], v[52:53], s[4:5], v[240:241]
	v_add_f64 v[214:215], v[242:243], v[214:215]
	v_add_f64 v[212:213], v[240:241], v[212:213]
	v_fma_f64 v[240:241], v[52:53], s[18:19], -v[220:221]
	v_fma_f64 v[52:53], v[52:53], s[18:19], v[220:221]
	v_add_f64 v[220:221], v[38:39], -v[98:99]
	v_add_f64 v[216:217], v[240:241], v[216:217]
	v_add_f64 v[34:35], v[52:53], v[34:35]
	v_add_f64 v[52:53], v[72:73], v[112:113]
	v_mul_f64 v[240:241], v[220:221], s[20:21]
	v_fma_f64 v[242:243], v[52:53], s[18:19], -v[240:241]
	v_fma_f64 v[240:241], v[52:53], s[18:19], v[240:241]
	v_add_f64 v[56:57], v[242:243], v[56:57]
	v_add_f64 v[54:55], v[240:241], v[54:55]
	v_mul_f64 v[240:241], v[220:221], s[30:31]
	v_fma_f64 v[242:243], v[52:53], s[16:17], -v[240:241]
	v_fma_f64 v[240:241], v[52:53], s[16:17], v[240:241]
	v_add_f64 v[206:207], v[242:243], v[206:207]
	v_add_f64 v[58:59], v[240:241], v[58:59]
	v_mul_f64 v[240:241], v[220:221], s[10:11]
	v_fma_f64 v[242:243], v[52:53], s[4:5], -v[240:241]
	v_fma_f64 v[240:241], v[52:53], s[4:5], v[240:241]
	v_add_f64 v[210:211], v[242:243], v[210:211]
	;; [unrolled: 27-line block ×3, first 2 shown]
	v_mul_f64 v[210:211], v[242:243], s[36:37]
	v_add_f64 v[58:59], v[58:59], v[208:209]
	v_fma_f64 v[208:209], v[240:241], s[6:7], -v[210:211]
	v_fma_f64 v[210:211], v[240:241], s[6:7], v[210:211]
	v_add_f64 v[208:209], v[208:209], v[214:215]
	v_mul_f64 v[214:215], v[242:243], s[14:15]
	v_add_f64 v[210:211], v[210:211], v[212:213]
	v_fma_f64 v[212:213], v[240:241], s[16:17], -v[214:215]
	v_fma_f64 v[214:215], v[240:241], s[16:17], v[214:215]
	v_add_f64 v[240:241], v[132:133], -v[194:195]
	v_add_f64 v[212:213], v[212:213], v[216:217]
	v_add_f64 v[214:215], v[214:215], v[220:221]
	;; [unrolled: 1-line block ×3, first 2 shown]
	v_mul_f64 v[242:243], v[240:241], s[10:11]
	v_mul_f64 v[246:247], v[240:241], s[26:27]
	;; [unrolled: 1-line block ×5, first 2 shown]
	v_add_f64 v[216:217], v[190:191], v[144:145]
	v_fma_f64 v[244:245], v[220:221], s[4:5], -v[242:243]
	v_fma_f64 v[242:243], v[220:221], s[4:5], v[242:243]
	v_fma_f64 v[248:249], v[220:221], s[6:7], -v[246:247]
	v_fma_f64 v[246:247], v[220:221], s[6:7], v[246:247]
	;; [unrolled: 2-line block ×5, first 2 shown]
	v_add_f64 v[240:241], v[86:87], -v[30:31]
	v_add_f64 v[244:245], v[190:191], v[244:245]
	v_add_f64 v[242:243], v[190:191], v[242:243]
	;; [unrolled: 1-line block ×11, first 2 shown]
	v_mul_f64 v[62:63], v[240:241], s[26:27]
	v_add_f64 v[216:217], v[216:217], v[88:89]
	v_fma_f64 v[74:75], v[220:221], s[6:7], -v[62:63]
	v_fma_f64 v[62:63], v[220:221], s[6:7], v[62:63]
	v_add_f64 v[216:217], v[216:217], v[78:79]
	v_add_f64 v[74:75], v[74:75], v[244:245]
	v_add_f64 v[62:63], v[62:63], v[242:243]
	v_mul_f64 v[242:243], v[240:241], s[20:21]
	v_add_f64 v[216:217], v[216:217], v[44:45]
	v_fma_f64 v[244:245], v[220:221], s[18:19], -v[242:243]
	v_fma_f64 v[242:243], v[220:221], s[18:19], v[242:243]
	v_add_f64 v[216:217], v[216:217], v[64:65]
	v_add_f64 v[244:245], v[244:245], v[248:249]
	v_add_f64 v[242:243], v[242:243], v[246:247]
	;; [unrolled: 7-line block ×3, first 2 shown]
	v_mul_f64 v[250:251], v[240:241], s[30:31]
	v_mul_f64 v[240:241], v[240:241], s[28:29]
	v_add_f64 v[216:217], v[216:217], v[140:141]
	v_fma_f64 v[252:253], v[220:221], s[16:17], -v[250:251]
	v_fma_f64 v[250:251], v[220:221], s[16:17], v[250:251]
	v_add_f64 v[216:217], v[216:217], v[192:193]
	v_add_f64 v[218:219], v[252:253], v[218:219]
	v_fma_f64 v[252:253], v[220:221], s[4:5], -v[240:241]
	v_fma_f64 v[220:221], v[220:221], s[4:5], v[240:241]
	v_add_f64 v[240:241], v[68:69], -v[36:37]
	v_add_f64 v[250:251], v[250:251], v[254:255]
	v_add_f64 v[216:217], v[216:217], v[196:197]
	;; [unrolled: 1-line block ×5, first 2 shown]
	v_mul_f64 v[252:253], v[240:241], s[14:15]
	v_fma_f64 v[254:255], v[220:221], s[16:17], -v[252:253]
	v_fma_f64 v[252:253], v[220:221], s[16:17], v[252:253]
	v_add_f64 v[74:75], v[254:255], v[74:75]
	v_add_f64 v[62:63], v[252:253], v[62:63]
	v_mul_f64 v[252:253], v[240:241], s[34:35]
	v_fma_f64 v[254:255], v[220:221], s[22:23], -v[252:253]
	v_fma_f64 v[252:253], v[220:221], s[22:23], v[252:253]
	v_add_f64 v[244:245], v[254:255], v[244:245]
	v_add_f64 v[242:243], v[252:253], v[242:243]
	;; [unrolled: 5-line block ×3, first 2 shown]
	v_mul_f64 v[252:253], v[240:241], s[10:11]
	v_mul_f64 v[240:241], v[240:241], s[20:21]
	v_fma_f64 v[254:255], v[220:221], s[4:5], -v[252:253]
	v_fma_f64 v[252:253], v[220:221], s[4:5], v[252:253]
	v_add_f64 v[218:219], v[254:255], v[218:219]
	v_add_f64 v[250:251], v[252:253], v[250:251]
	v_fma_f64 v[252:253], v[220:221], s[18:19], -v[240:241]
	v_fma_f64 v[220:221], v[220:221], s[18:19], v[240:241]
	v_add_f64 v[240:241], v[28:29], -v[46:47]
	v_add_f64 v[60:61], v[252:253], v[60:61]
	v_add_f64 v[190:191], v[220:221], v[190:191]
	;; [unrolled: 1-line block ×3, first 2 shown]
	v_mul_f64 v[252:253], v[240:241], s[20:21]
	v_fma_f64 v[254:255], v[220:221], s[18:19], -v[252:253]
	v_fma_f64 v[252:253], v[220:221], s[18:19], v[252:253]
	v_add_f64 v[74:75], v[254:255], v[74:75]
	v_add_f64 v[62:63], v[252:253], v[62:63]
	v_mul_f64 v[252:253], v[240:241], s[30:31]
	v_fma_f64 v[254:255], v[220:221], s[16:17], -v[252:253]
	v_fma_f64 v[252:253], v[220:221], s[16:17], v[252:253]
	v_add_f64 v[244:245], v[254:255], v[244:245]
	v_add_f64 v[242:243], v[252:253], v[242:243]
	;; [unrolled: 5-line block ×3, first 2 shown]
	v_mul_f64 v[252:253], v[240:241], s[24:25]
	v_mul_f64 v[240:241], v[240:241], s[36:37]
	v_fma_f64 v[254:255], v[220:221], s[22:23], -v[252:253]
	v_fma_f64 v[252:253], v[220:221], s[22:23], v[252:253]
	v_add_f64 v[218:219], v[254:255], v[218:219]
	v_add_f64 v[250:251], v[252:253], v[250:251]
	v_fma_f64 v[252:253], v[220:221], s[6:7], -v[240:241]
	v_fma_f64 v[220:221], v[220:221], s[6:7], v[240:241]
	v_add_f64 v[240:241], v[50:51], -v[40:41]
	v_add_f64 v[60:61], v[252:253], v[60:61]
	v_add_f64 v[190:191], v[220:221], v[190:191]
	v_add_f64 v[220:221], v[64:65], v[114:115]
	v_mul_f64 v[252:253], v[240:241], s[24:25]
	v_fma_f64 v[254:255], v[220:221], s[22:23], -v[252:253]
	v_fma_f64 v[252:253], v[220:221], s[22:23], v[252:253]
	v_add_f64 v[74:75], v[254:255], v[74:75]
	v_add_f64 v[62:63], v[252:253], v[62:63]
	v_mul_f64 v[252:253], v[240:241], s[28:29]
	v_fma_f64 v[254:255], v[220:221], s[4:5], -v[252:253]
	v_fma_f64 v[252:253], v[220:221], s[4:5], v[252:253]
	v_add_f64 v[244:245], v[254:255], v[244:245]
	v_add_f64 v[242:243], v[252:253], v[242:243]
	;; [unrolled: 5-line block ×3, first 2 shown]
	v_mul_f64 v[252:253], v[240:241], s[36:37]
	v_mul_f64 v[240:241], v[240:241], s[14:15]
	v_fma_f64 v[254:255], v[220:221], s[6:7], -v[252:253]
	v_fma_f64 v[252:253], v[220:221], s[6:7], v[252:253]
	v_add_f64 v[218:219], v[254:255], v[218:219]
	v_add_f64 v[250:251], v[252:253], v[250:251]
	v_fma_f64 v[252:253], v[220:221], s[16:17], -v[240:241]
	v_fma_f64 v[220:221], v[220:221], s[16:17], v[240:241]
	v_add_f64 v[60:61], v[252:253], v[60:61]
	v_add_f64 v[240:241], v[220:221], v[190:191]
	v_mov_b32_e32 v220, 3
	v_mul_u32_u24_e32 v190, 0x268, v234
	v_lshlrev_b32_sdwa v191, v220, v235 dst_sel:DWORD dst_unused:UNUSED_PAD src0_sel:DWORD src1_sel:BYTE_0
	v_add3_u32 v190, 0, v190, v191
	ds_write2_b64 v190, v[8:9], v[10:11] offset1:7
	ds_write2_b64 v190, v[14:15], v[18:19] offset0:14 offset1:21
	ds_write2_b64 v190, v[20:21], v[24:25] offset0:28 offset1:35
	;; [unrolled: 1-line block ×4, first 2 shown]
	ds_write_b64 v190, v[4:5] offset:560
	v_mul_u32_u24_e32 v4, 0x268, v236
	v_lshlrev_b32_sdwa v5, v220, v237 dst_sel:DWORD dst_unused:UNUSED_PAD src0_sel:DWORD src1_sel:BYTE_0
	v_add3_u32 v191, 0, v4, v5
	v_mul_u32_u24_e32 v4, 0x268, v238
	v_lshlrev_b32_sdwa v5, v220, v239 dst_sel:DWORD dst_unused:UNUSED_PAD src0_sel:DWORD src1_sel:BYTE_0
	ds_write2_b64 v191, v[32:33], v[52:53] offset1:7
	ds_write2_b64 v191, v[56:57], v[206:207] offset0:14 offset1:21
	ds_write2_b64 v191, v[208:209], v[212:213] offset0:28 offset1:35
	;; [unrolled: 1-line block ×4, first 2 shown]
	ds_write_b64 v191, v[34:35] offset:560
	v_add3_u32 v206, 0, v4, v5
	ds_write2_b64 v206, v[216:217], v[74:75] offset1:7
	ds_write2_b64 v206, v[244:245], v[248:249] offset0:14 offset1:21
	ds_write2_b64 v206, v[218:219], v[60:61] offset0:28 offset1:35
	;; [unrolled: 1-line block ×4, first 2 shown]
	ds_write_b64 v206, v[62:63] offset:560
	s_and_saveexec_b64 s[38:39], s[0:1]
	s_cbranch_execz .LBB0_19
; %bb.18:
	buffer_load_dword v236, off, s[40:43], 0 offset:16 ; 4-byte Folded Reload
	buffer_load_dword v237, off, s[40:43], 0 offset:20 ; 4-byte Folded Reload
	;; [unrolled: 1-line block ×6, first 2 shown]
	v_add_f64 v[4:5], v[184:185], -v[198:199]
	v_add_f64 v[18:19], v[120:121], -v[200:201]
	v_add_f64 v[20:21], v[182:183], v[204:205]
	v_add_f64 v[26:27], v[116:117], v[202:203]
	;; [unrolled: 1-line block ×3, first 2 shown]
	v_add_f64 v[10:11], v[80:81], -v[82:83]
	v_add_f64 v[8:9], v[100:101], v[110:111]
	v_mul_f64 v[22:23], v[4:5], s[24:25]
	v_mul_f64 v[32:33], v[4:5], s[20:21]
	;; [unrolled: 1-line block ×6, first 2 shown]
	v_fma_f64 v[58:59], v[20:21], s[22:23], v[22:23]
	v_fma_f64 v[22:23], v[20:21], s[22:23], -v[22:23]
	v_fma_f64 v[62:63], v[20:21], s[18:19], v[32:33]
	v_fma_f64 v[209:210], v[26:27], s[4:5], v[54:55]
	v_fma_f64 v[54:55], v[26:27], s[4:5], -v[54:55]
	v_fma_f64 v[211:212], v[26:27], s[16:17], v[60:61]
	v_fma_f64 v[32:33], v[20:21], s[18:19], -v[32:33]
	v_add_f64 v[58:59], v[162:163], v[58:59]
	v_add_f64 v[22:23], v[162:163], v[22:23]
	;; [unrolled: 1-line block ×7, first 2 shown]
	v_mul_f64 v[211:212], v[4:5], s[14:15]
	v_mul_f64 v[209:210], v[18:19], s[34:35]
	s_waitcnt vmcnt(4)
	v_add_f64 v[12:13], v[236:237], v[160:161]
	s_waitcnt vmcnt(2)
	v_add_f64 v[14:15], v[14:15], -v[126:127]
	s_waitcnt vmcnt(0)
	v_add_f64 v[16:17], v[16:17], -v[186:187]
	v_mul_f64 v[52:53], v[14:15], s[36:37]
	v_mul_f64 v[56:57], v[16:17], s[20:21]
	;; [unrolled: 1-line block ×5, first 2 shown]
	v_fma_f64 v[234:235], v[12:13], s[6:7], v[52:53]
	v_fma_f64 v[217:218], v[24:25], s[18:19], v[56:57]
	v_fma_f64 v[56:57], v[24:25], s[18:19], -v[56:57]
	v_fma_f64 v[54:55], v[24:25], s[4:5], v[207:208]
	v_fma_f64 v[52:53], v[12:13], s[6:7], -v[52:53]
	v_add_f64 v[58:59], v[217:218], v[58:59]
	v_add_f64 v[22:23], v[56:57], v[22:23]
	v_fma_f64 v[56:57], v[12:13], s[22:23], v[213:214]
	v_add_f64 v[54:55], v[54:55], v[62:63]
	v_fma_f64 v[62:63], v[8:9], s[16:17], v[34:35]
	v_fma_f64 v[34:35], v[8:9], s[16:17], -v[34:35]
	v_fma_f64 v[217:218], v[20:21], s[16:17], v[211:212]
	v_add_f64 v[58:59], v[234:235], v[58:59]
	v_add_f64 v[22:23], v[52:53], v[22:23]
	v_fma_f64 v[52:53], v[8:9], s[6:7], v[74:75]
	v_add_f64 v[54:55], v[56:57], v[54:55]
	v_fma_f64 v[56:57], v[26:27], s[16:17], -v[60:61]
	v_fma_f64 v[60:61], v[26:27], s[22:23], v[209:210]
	v_add_f64 v[217:218], v[162:163], v[217:218]
	v_mul_f64 v[234:235], v[16:17], s[34:35]
	v_add_f64 v[58:59], v[62:63], v[58:59]
	v_add_f64 v[22:23], v[34:35], v[22:23]
	v_fma_f64 v[34:35], v[20:21], s[16:17], -v[211:212]
	v_add_f64 v[52:53], v[52:53], v[54:55]
	v_fma_f64 v[54:55], v[24:25], s[4:5], -v[207:208]
	v_add_f64 v[32:33], v[56:57], v[32:33]
	v_fma_f64 v[62:63], v[24:25], s[6:7], v[215:216]
	v_add_f64 v[60:61], v[60:61], v[217:218]
	v_fma_f64 v[207:208], v[26:27], s[22:23], -v[209:210]
	v_add_f64 v[211:212], v[162:163], v[182:183]
	v_add_f64 v[34:35], v[162:163], v[34:35]
	v_mul_f64 v[56:57], v[14:15], s[10:11]
	v_fma_f64 v[209:210], v[12:13], s[22:23], -v[213:214]
	v_add_f64 v[32:33], v[54:55], v[32:33]
	v_mul_f64 v[16:17], v[16:17], s[14:15]
	v_add_f64 v[60:61], v[62:63], v[60:61]
	v_fma_f64 v[62:63], v[24:25], s[6:7], -v[215:216]
	v_mul_f64 v[217:218], v[14:15], s[30:31]
	v_add_f64 v[34:35], v[207:208], v[34:35]
	v_add_f64 v[207:208], v[211:212], v[116:117]
	v_fma_f64 v[213:214], v[12:13], s[4:5], v[56:57]
	v_add_f64 v[32:33], v[209:210], v[32:33]
	v_mul_f64 v[209:210], v[4:5], s[26:27]
	v_fma_f64 v[56:57], v[12:13], s[4:5], -v[56:57]
	v_mul_f64 v[4:5], v[4:5], s[10:11]
	v_mul_f64 v[14:15], v[14:15], s[20:21]
	v_add_f64 v[34:35], v[62:63], v[34:35]
	v_add_f64 v[62:63], v[207:208], v[90:91]
	;; [unrolled: 1-line block ×3, first 2 shown]
	v_mul_f64 v[207:208], v[18:19], s[20:21]
	v_fma_f64 v[213:214], v[20:21], s[6:7], v[209:210]
	v_mul_f64 v[18:19], v[18:19], s[26:27]
	v_fma_f64 v[242:243], v[20:21], s[4:5], -v[4:5]
	v_fma_f64 v[209:210], v[20:21], s[6:7], -v[209:210]
	v_add_f64 v[34:35], v[56:57], v[34:35]
	v_add_f64 v[56:57], v[62:63], v[236:237]
	v_fma_f64 v[4:5], v[20:21], s[4:5], v[4:5]
	v_fma_f64 v[62:63], v[26:27], s[18:19], v[207:208]
	v_add_f64 v[213:214], v[162:163], v[213:214]
	v_fma_f64 v[20:21], v[26:27], s[6:7], -v[18:19]
	v_fma_f64 v[207:208], v[26:27], s[18:19], -v[207:208]
	v_add_f64 v[209:210], v[162:163], v[209:210]
	v_fma_f64 v[18:19], v[26:27], s[6:7], v[18:19]
	v_add_f64 v[56:57], v[56:57], v[100:101]
	v_add_f64 v[4:5], v[162:163], v[4:5]
	v_fma_f64 v[26:27], v[24:25], s[16:17], -v[16:17]
	v_add_f64 v[62:63], v[62:63], v[213:214]
	v_add_f64 v[213:214], v[162:163], v[242:243]
	v_fma_f64 v[240:241], v[24:25], s[22:23], v[234:235]
	v_fma_f64 v[234:235], v[24:25], s[22:23], -v[234:235]
	v_add_f64 v[162:163], v[207:208], v[209:210]
	v_add_f64 v[56:57], v[56:57], v[110:111]
	v_fma_f64 v[16:17], v[24:25], s[16:17], v[16:17]
	v_add_f64 v[4:5], v[18:19], v[4:5]
	v_mul_f64 v[54:55], v[10:11], s[20:21]
	v_add_f64 v[20:21], v[20:21], v[213:214]
	v_mul_f64 v[215:216], v[10:11], s[28:29]
	v_mul_f64 v[10:11], v[10:11], s[24:25]
	v_fma_f64 v[18:19], v[12:13], s[18:19], -v[14:15]
	v_add_f64 v[56:57], v[56:57], v[160:161]
	v_fma_f64 v[207:208], v[12:13], s[16:17], -v[217:218]
	v_fma_f64 v[238:239], v[12:13], s[16:17], v[217:218]
	v_fma_f64 v[12:13], v[12:13], s[18:19], v[14:15]
	v_add_f64 v[20:21], v[26:27], v[20:21]
	v_add_f64 v[26:27], v[234:235], v[162:163]
	;; [unrolled: 1-line block ×3, first 2 shown]
	v_fma_f64 v[16:17], v[8:9], s[22:23], -v[10:11]
	v_add_f64 v[24:25], v[56:57], v[188:189]
	v_add_f64 v[56:57], v[240:241], v[62:63]
	v_fma_f64 v[211:212], v[8:9], s[18:19], v[54:55]
	v_fma_f64 v[54:55], v[8:9], s[18:19], -v[54:55]
	v_add_f64 v[18:19], v[18:19], v[20:21]
	v_fma_f64 v[14:15], v[8:9], s[4:5], -v[215:216]
	v_fma_f64 v[74:75], v[8:9], s[6:7], -v[74:75]
	v_fma_f64 v[236:237], v[8:9], s[4:5], v[215:216]
	v_add_f64 v[20:21], v[24:25], v[202:203]
	v_add_f64 v[24:25], v[207:208], v[26:27]
	;; [unrolled: 1-line block ×3, first 2 shown]
	v_fma_f64 v[8:9], v[8:9], s[22:23], v[10:11]
	v_add_f64 v[4:5], v[12:13], v[4:5]
	v_add_f64 v[16:17], v[16:17], v[18:19]
	;; [unrolled: 1-line block ×9, first 2 shown]
	v_mul_u32_u24_e32 v8, 0x268, v222
	v_lshlrev_b32_sdwa v9, v220, v223 dst_sel:DWORD dst_unused:UNUSED_PAD src0_sel:DWORD src1_sel:BYTE_0
	v_add3_u32 v8, 0, v8, v9
	ds_write2_b64 v8, v[18:19], v[16:17] offset1:7
	ds_write2_b64 v8, v[14:15], v[12:13] offset0:14 offset1:21
	ds_write2_b64 v8, v[10:11], v[22:23] offset0:28 offset1:35
	ds_write2_b64 v8, v[58:59], v[52:53] offset0:42 offset1:49
	ds_write2_b64 v8, v[20:21], v[24:25] offset0:56 offset1:63
	ds_write_b64 v8, v[4:5] offset:560
.LBB0_19:
	s_or_b64 exec, exec, s[38:39]
	v_add_f64 v[4:5], v[0:1], v[176:177]
	v_add_f64 v[8:9], v[174:175], -v[178:179]
	v_add_f64 v[10:11], v[176:177], v[102:103]
	v_add_f64 v[14:15], v[172:173], -v[146:147]
	;; [unrolled: 2-line block ×3, first 2 shown]
	v_add_f64 v[16:17], v[158:159], v[118:119]
	s_waitcnt lgkmcnt(0)
	v_add_f64 v[4:5], v[4:5], v[168:169]
	v_mul_f64 v[20:21], v[8:9], s[10:11]
	v_mul_f64 v[22:23], v[8:9], s[26:27]
	;; [unrolled: 1-line block ×7, first 2 shown]
	v_add_f64 v[4:5], v[4:5], v[158:159]
	v_fma_f64 v[62:63], v[10:11], s[4:5], v[20:21]
	v_fma_f64 v[20:21], v[10:11], s[4:5], -v[20:21]
	v_mul_f64 v[52:53], v[14:15], s[34:35]
	v_mul_f64 v[54:55], v[14:15], s[30:31]
	;; [unrolled: 1-line block ×4, first 2 shown]
	v_fma_f64 v[74:75], v[10:11], s[6:7], v[22:23]
	v_add_f64 v[4:5], v[4:5], v[122:123]
	v_fma_f64 v[22:23], v[10:11], s[6:7], -v[22:23]
	v_fma_f64 v[146:147], v[10:11], s[16:17], v[24:25]
	v_fma_f64 v[24:25], v[10:11], s[16:17], -v[24:25]
	v_fma_f64 v[150:151], v[10:11], s[18:19], v[26:27]
	;; [unrolled: 2-line block ×3, first 2 shown]
	v_fma_f64 v[8:9], v[10:11], s[22:23], -v[8:9]
	v_add_f64 v[4:5], v[4:5], v[2:3]
	v_fma_f64 v[10:11], v[12:13], s[6:7], v[32:33]
	v_fma_f64 v[32:33], v[12:13], s[6:7], -v[32:33]
	v_add_f64 v[62:63], v[0:1], v[62:63]
	v_add_f64 v[20:21], v[0:1], v[20:21]
	v_mul_f64 v[58:59], v[18:19], s[34:35]
	v_mul_f64 v[60:61], v[18:19], s[36:37]
	v_fma_f64 v[162:163], v[12:13], s[18:19], v[34:35]
	v_add_f64 v[4:5], v[4:5], v[6:7]
	v_fma_f64 v[34:35], v[12:13], s[18:19], -v[34:35]
	v_fma_f64 v[168:169], v[12:13], s[22:23], v[52:53]
	v_fma_f64 v[52:53], v[12:13], s[22:23], -v[52:53]
	v_fma_f64 v[170:171], v[12:13], s[16:17], v[54:55]
	;; [unrolled: 2-line block ×3, first 2 shown]
	v_fma_f64 v[12:13], v[12:13], s[4:5], -v[14:15]
	v_add_f64 v[4:5], v[4:5], v[42:43]
	v_fma_f64 v[14:15], v[16:17], s[16:17], v[56:57]
	v_fma_f64 v[56:57], v[16:17], s[16:17], -v[56:57]
	v_add_f64 v[74:75], v[0:1], v[74:75]
	v_add_f64 v[22:23], v[0:1], v[22:23]
	;; [unrolled: 1-line block ×18, first 2 shown]
	v_fma_f64 v[12:13], v[16:17], s[22:23], -v[58:59]
	v_fma_f64 v[14:15], v[16:17], s[6:7], v[60:61]
	v_add_f64 v[10:11], v[56:57], v[10:11]
	v_add_f64 v[102:103], v[4:5], v[102:103]
	v_mul_f64 v[4:5], v[18:19], s[10:11]
	v_add_f64 v[54:55], v[134:135], -v[96:97]
	v_mul_f64 v[18:19], v[18:19], s[20:21]
	v_fma_f64 v[56:57], v[16:17], s[6:7], -v[60:61]
	v_fma_f64 v[174:175], v[16:17], s[22:23], v[58:59]
	v_add_f64 v[52:53], v[172:173], v[118:119]
	v_add_f64 v[12:13], v[12:13], v[22:23]
	;; [unrolled: 1-line block ×3, first 2 shown]
	v_fma_f64 v[58:59], v[16:17], s[4:5], v[4:5]
	v_fma_f64 v[4:5], v[16:17], s[4:5], -v[4:5]
	v_add_f64 v[22:23], v[122:123], v[42:43]
	v_mul_f64 v[32:33], v[54:55], s[20:21]
	v_fma_f64 v[42:43], v[16:17], s[18:19], v[18:19]
	v_add_f64 v[24:25], v[56:57], v[24:25]
	v_add_f64 v[56:57], v[166:167], v[142:143]
	v_add_f64 v[34:35], v[170:171], v[150:151]
	v_fma_f64 v[16:17], v[16:17], s[18:19], -v[18:19]
	v_add_f64 v[4:5], v[4:5], v[26:27]
	v_add_f64 v[20:21], v[162:163], v[74:75]
	v_fma_f64 v[18:19], v[22:23], s[18:19], v[32:33]
	v_add_f64 v[26:27], v[42:43], v[52:53]
	v_fma_f64 v[32:33], v[22:23], s[18:19], -v[32:33]
	v_mul_f64 v[42:43], v[54:55], s[10:11]
	v_add_f64 v[52:53], v[56:57], v[136:137]
	v_add_f64 v[34:35], v[58:59], v[34:35]
	v_mul_f64 v[58:59], v[54:55], s[30:31]
	v_add_f64 v[20:21], v[174:175], v[20:21]
	v_add_f64 v[8:9], v[18:19], v[8:9]
	v_add_f64 v[0:1], v[16:17], v[0:1]
	v_add_f64 v[10:11], v[32:33], v[10:11]
	v_fma_f64 v[18:19], v[22:23], s[4:5], v[42:43]
	v_add_f64 v[32:33], v[52:53], v[124:125]
	v_mul_f64 v[16:17], v[54:55], s[24:25]
	v_fma_f64 v[56:57], v[22:23], s[16:17], v[58:59]
	v_add_f64 v[52:53], v[70:71], -v[66:67]
	v_mul_f64 v[54:55], v[54:55], s[36:37]
	v_add_f64 v[2:3], v[2:3], v[6:7]
	v_fma_f64 v[58:59], v[22:23], s[16:17], -v[58:59]
	v_add_f64 v[14:15], v[18:19], v[14:15]
	v_add_f64 v[18:19], v[32:33], v[38:39]
	v_fma_f64 v[42:43], v[22:23], s[4:5], -v[42:43]
	v_add_f64 v[20:21], v[56:57], v[20:21]
	v_fma_f64 v[56:57], v[22:23], s[22:23], v[16:17]
	v_fma_f64 v[16:17], v[22:23], s[22:23], -v[16:17]
	v_mul_f64 v[6:7], v[52:53], s[24:25]
	v_add_f64 v[12:13], v[58:59], v[12:13]
	v_add_u32_e32 v170, 0x2c00, v230
	v_add_f64 v[18:19], v[18:19], v[48:49]
	v_add_f64 v[24:25], v[42:43], v[24:25]
	v_mul_f64 v[42:43], v[52:53], s[28:29]
	v_add_f64 v[32:33], v[56:57], v[34:35]
	v_fma_f64 v[34:35], v[22:23], s[6:7], v[54:55]
	v_add_f64 v[4:5], v[16:17], v[4:5]
	v_fma_f64 v[16:17], v[22:23], s[6:7], -v[54:55]
	v_fma_f64 v[22:23], v[2:3], s[22:23], v[6:7]
	v_fma_f64 v[6:7], v[2:3], s[22:23], -v[6:7]
	v_add_f64 v[18:19], v[18:19], v[76:77]
	v_mul_f64 v[54:55], v[52:53], s[20:21]
	; wave barrier
	v_add_f64 v[26:27], v[34:35], v[26:27]
	v_fma_f64 v[34:35], v[2:3], s[4:5], v[42:43]
	v_fma_f64 v[42:43], v[2:3], s[4:5], -v[42:43]
	v_add_f64 v[0:1], v[16:17], v[0:1]
	v_add_f64 v[96:97], v[6:7], v[10:11]
	;; [unrolled: 1-line block ×4, first 2 shown]
	v_fma_f64 v[6:7], v[2:3], s[18:19], v[54:55]
	v_mul_f64 v[8:9], v[52:53], s[36:37]
	v_mul_f64 v[16:17], v[52:53], s[14:15]
	v_add_f64 v[118:119], v[42:43], v[12:13]
	v_add_f64 v[12:13], v[154:155], -v[180:181]
	v_add_f64 v[122:123], v[34:35], v[20:21]
	v_add_f64 v[10:11], v[10:11], v[94:95]
	v_fma_f64 v[18:19], v[2:3], s[18:19], -v[54:55]
	v_add_f64 v[134:135], v[6:7], v[14:15]
	v_fma_f64 v[6:7], v[2:3], s[6:7], v[8:9]
	v_fma_f64 v[8:9], v[2:3], s[6:7], -v[8:9]
	v_add_f64 v[14:15], v[142:143], v[156:157]
	v_mul_f64 v[20:21], v[12:13], s[10:11]
	v_fma_f64 v[22:23], v[2:3], s[16:17], v[16:17]
	v_add_f64 v[10:11], v[10:11], v[148:149]
	v_fma_f64 v[2:3], v[2:3], s[16:17], -v[16:17]
	v_add_f64 v[16:17], v[138:139], -v[152:153]
	v_add_f64 v[142:143], v[18:19], v[24:25]
	v_add_f64 v[146:147], v[6:7], v[32:33]
	v_mul_f64 v[6:7], v[12:13], s[26:27]
	v_add_f64 v[150:151], v[8:9], v[4:5]
	v_fma_f64 v[4:5], v[14:15], s[4:5], v[20:21]
	v_add_f64 v[156:157], v[10:11], v[156:157]
	v_mul_f64 v[10:11], v[12:13], s[20:21]
	v_add_f64 v[154:155], v[22:23], v[26:27]
	v_fma_f64 v[8:9], v[14:15], s[4:5], -v[20:21]
	v_add_f64 v[158:159], v[2:3], v[0:1]
	v_mul_f64 v[0:1], v[12:13], s[14:15]
	v_mul_f64 v[12:13], v[12:13], s[24:25]
	v_add_f64 v[22:23], v[136:137], v[148:149]
	v_mul_f64 v[24:25], v[16:17], s[26:27]
	v_fma_f64 v[20:21], v[14:15], s[18:19], v[10:11]
	v_fma_f64 v[2:3], v[14:15], s[6:7], v[6:7]
	v_fma_f64 v[6:7], v[14:15], s[6:7], -v[6:7]
	v_add_f64 v[4:5], v[166:167], v[4:5]
	v_add_f64 v[8:9], v[166:167], v[8:9]
	v_fma_f64 v[18:19], v[14:15], s[16:17], v[0:1]
	v_fma_f64 v[0:1], v[14:15], s[16:17], -v[0:1]
	v_fma_f64 v[10:11], v[14:15], s[18:19], -v[10:11]
	v_fma_f64 v[26:27], v[14:15], s[22:23], v[12:13]
	v_mul_f64 v[32:33], v[16:17], s[20:21]
	v_fma_f64 v[12:13], v[14:15], s[22:23], -v[12:13]
	v_add_f64 v[14:15], v[166:167], v[20:21]
	v_fma_f64 v[20:21], v[22:23], s[6:7], v[24:25]
	v_fma_f64 v[24:25], v[22:23], s[6:7], -v[24:25]
	v_add_f64 v[2:3], v[166:167], v[2:3]
	v_add_f64 v[6:7], v[166:167], v[6:7]
	v_mul_f64 v[42:43], v[16:17], s[34:35]
	v_fma_f64 v[34:35], v[22:23], s[18:19], v[32:33]
	v_fma_f64 v[32:33], v[22:23], s[18:19], -v[32:33]
	v_add_f64 v[18:19], v[166:167], v[18:19]
	v_add_f64 v[4:5], v[20:21], v[4:5]
	;; [unrolled: 1-line block ×3, first 2 shown]
	v_add_f64 v[20:21], v[130:131], -v[108:109]
	v_mul_f64 v[24:25], v[16:17], s[30:31]
	v_add_f64 v[0:1], v[166:167], v[0:1]
	v_add_f64 v[10:11], v[166:167], v[10:11]
	;; [unrolled: 1-line block ×3, first 2 shown]
	v_fma_f64 v[34:35], v[22:23], s[22:23], v[42:43]
	v_fma_f64 v[42:43], v[22:23], s[22:23], -v[42:43]
	v_add_f64 v[6:7], v[32:33], v[6:7]
	v_mul_f64 v[16:17], v[16:17], s[28:29]
	v_add_f64 v[32:33], v[124:125], v[94:95]
	v_mul_f64 v[52:53], v[20:21], s[14:15]
	v_fma_f64 v[54:55], v[22:23], s[16:17], v[24:25]
	v_fma_f64 v[24:25], v[22:23], s[16:17], -v[24:25]
	v_add_f64 v[26:27], v[166:167], v[26:27]
	v_add_f64 v[12:13], v[166:167], v[12:13]
	;; [unrolled: 1-line block ×4, first 2 shown]
	v_mul_f64 v[34:35], v[20:21], s[34:35]
	v_fma_f64 v[42:43], v[22:23], s[4:5], v[16:17]
	v_fma_f64 v[16:17], v[22:23], s[4:5], -v[16:17]
	v_fma_f64 v[22:23], v[32:33], s[16:17], v[52:53]
	v_add_f64 v[10:11], v[24:25], v[10:11]
	v_mul_f64 v[24:25], v[20:21], s[36:37]
	v_add_f64 v[14:15], v[54:55], v[14:15]
	v_fma_f64 v[52:53], v[32:33], s[16:17], -v[52:53]
	v_fma_f64 v[54:55], v[32:33], s[22:23], v[34:35]
	v_add_f64 v[26:27], v[42:43], v[26:27]
	v_add_f64 v[12:13], v[16:17], v[12:13]
	;; [unrolled: 1-line block ×3, first 2 shown]
	v_fma_f64 v[16:17], v[32:33], s[22:23], -v[34:35]
	v_mul_f64 v[22:23], v[20:21], s[10:11]
	v_fma_f64 v[34:35], v[32:33], s[6:7], v[24:25]
	v_add_f64 v[42:43], v[72:73], -v[112:113]
	v_fma_f64 v[24:25], v[32:33], s[6:7], -v[24:25]
	v_mul_f64 v[20:21], v[20:21], s[20:21]
	v_add_f64 v[8:9], v[52:53], v[8:9]
	v_add_f64 v[2:3], v[54:55], v[2:3]
	;; [unrolled: 1-line block ×3, first 2 shown]
	v_fma_f64 v[16:17], v[32:33], s[4:5], v[22:23]
	v_add_f64 v[18:19], v[34:35], v[18:19]
	v_fma_f64 v[22:23], v[32:33], s[4:5], -v[22:23]
	v_add_f64 v[34:35], v[38:39], v[98:99]
	v_mul_f64 v[38:39], v[42:43], s[20:21]
	v_add_f64 v[0:1], v[24:25], v[0:1]
	v_add_f64 v[24:25], v[164:165], v[132:133]
	v_fma_f64 v[52:53], v[32:33], s[18:19], v[20:21]
	v_add_f64 v[14:15], v[16:17], v[14:15]
	v_mul_f64 v[16:17], v[42:43], s[30:31]
	v_add_f64 v[10:11], v[22:23], v[10:11]
	v_fma_f64 v[20:21], v[32:33], s[18:19], -v[20:21]
	v_fma_f64 v[22:23], v[34:35], s[18:19], v[38:39]
	v_fma_f64 v[32:33], v[34:35], s[18:19], -v[38:39]
	v_add_f64 v[24:25], v[24:25], v[86:87]
	v_add_f64 v[26:27], v[52:53], v[26:27]
	v_mul_f64 v[38:39], v[42:43], s[10:11]
	v_fma_f64 v[52:53], v[34:35], s[16:17], v[16:17]
	v_fma_f64 v[16:17], v[34:35], s[16:17], -v[16:17]
	v_add_f64 v[12:13], v[20:21], v[12:13]
	v_add_f64 v[4:5], v[22:23], v[4:5]
	v_mul_f64 v[20:21], v[42:43], s[24:25]
	v_add_f64 v[22:23], v[24:25], v[68:69]
	v_add_f64 v[8:9], v[32:33], v[8:9]
	v_fma_f64 v[24:25], v[34:35], s[4:5], v[38:39]
	v_fma_f64 v[32:33], v[34:35], s[4:5], -v[38:39]
	v_add_f64 v[6:7], v[16:17], v[6:7]
	v_add_f64 v[16:17], v[84:85], -v[92:93]
	v_mul_f64 v[42:43], v[42:43], s[36:37]
	v_fma_f64 v[38:39], v[34:35], s[22:23], v[20:21]
	v_add_f64 v[22:23], v[22:23], v[28:29]
	v_fma_f64 v[20:21], v[34:35], s[22:23], -v[20:21]
	v_add_f64 v[18:19], v[24:25], v[18:19]
	v_add_f64 v[24:25], v[48:49], v[76:77]
	;; [unrolled: 1-line block ×3, first 2 shown]
	v_mul_f64 v[48:49], v[16:17], s[24:25]
	v_fma_f64 v[32:33], v[34:35], s[6:7], v[42:43]
	v_add_f64 v[14:15], v[38:39], v[14:15]
	v_add_f64 v[22:23], v[22:23], v[50:51]
	v_mul_f64 v[38:39], v[16:17], s[28:29]
	v_fma_f64 v[34:35], v[34:35], s[6:7], -v[42:43]
	v_add_f64 v[2:3], v[52:53], v[2:3]
	v_add_f64 v[10:11], v[20:21], v[10:11]
	v_fma_f64 v[20:21], v[24:25], s[22:23], v[48:49]
	v_fma_f64 v[42:43], v[24:25], s[22:23], -v[48:49]
	v_mul_f64 v[48:49], v[16:17], s[20:21]
	v_add_f64 v[26:27], v[32:33], v[26:27]
	v_add_f64 v[22:23], v[22:23], v[40:41]
	v_fma_f64 v[32:33], v[24:25], s[4:5], v[38:39]
	v_add_f64 v[12:13], v[34:35], v[12:13]
	v_fma_f64 v[34:35], v[24:25], s[4:5], -v[38:39]
	v_add_f64 v[60:61], v[20:21], v[4:5]
	v_add_f64 v[62:63], v[42:43], v[8:9]
	v_fma_f64 v[4:5], v[24:25], s[18:19], v[48:49]
	v_mul_f64 v[8:9], v[16:17], s[36:37]
	v_add_f64 v[20:21], v[22:23], v[46:47]
	v_add_f64 v[74:75], v[32:33], v[2:3]
	v_add_f64 v[2:3], v[144:145], -v[196:197]
	v_add_f64 v[76:77], v[34:35], v[6:7]
	v_fma_f64 v[6:7], v[24:25], s[18:19], -v[48:49]
	v_mul_f64 v[16:17], v[16:17], s[14:15]
	v_add_f64 v[84:85], v[4:5], v[18:19]
	v_fma_f64 v[4:5], v[24:25], s[6:7], v[8:9]
	v_add_f64 v[18:19], v[20:21], v[36:37]
	v_add_f64 v[20:21], v[132:133], v[194:195]
	v_mul_f64 v[22:23], v[2:3], s[10:11]
	v_fma_f64 v[8:9], v[24:25], s[6:7], -v[8:9]
	v_add_f64 v[92:93], v[6:7], v[0:1]
	v_fma_f64 v[6:7], v[24:25], s[16:17], -v[16:17]
	v_fma_f64 v[0:1], v[24:25], s[16:17], v[16:17]
	v_add_f64 v[94:95], v[4:5], v[14:15]
	v_add_f64 v[4:5], v[18:19], v[30:31]
	v_mul_f64 v[16:17], v[2:3], s[26:27]
	v_fma_f64 v[14:15], v[20:21], s[4:5], v[22:23]
	v_add_f64 v[98:99], v[8:9], v[10:11]
	v_fma_f64 v[8:9], v[20:21], s[4:5], -v[22:23]
	v_add_f64 v[112:113], v[6:7], v[12:13]
	v_add_f64 v[12:13], v[88:89], -v[192:193]
	v_mul_f64 v[6:7], v[2:3], s[14:15]
	v_add_f64 v[144:145], v[4:5], v[194:195]
	v_add_f64 v[18:19], v[86:87], v[30:31]
	;; [unrolled: 1-line block ×3, first 2 shown]
	v_mul_f64 v[14:15], v[2:3], s[20:21]
	v_mul_f64 v[2:3], v[2:3], s[24:25]
	v_add_f64 v[108:109], v[0:1], v[26:27]
	v_mul_f64 v[22:23], v[12:13], s[26:27]
	v_fma_f64 v[0:1], v[20:21], s[6:7], v[16:17]
	v_fma_f64 v[10:11], v[20:21], s[6:7], -v[16:17]
	v_add_f64 v[8:9], v[164:165], v[8:9]
	v_fma_f64 v[16:17], v[20:21], s[16:17], v[6:7]
	v_fma_f64 v[6:7], v[20:21], s[16:17], -v[6:7]
	v_fma_f64 v[24:25], v[20:21], s[18:19], v[14:15]
	v_fma_f64 v[14:15], v[20:21], s[18:19], -v[14:15]
	v_fma_f64 v[26:27], v[20:21], s[22:23], v[2:3]
	v_mul_f64 v[30:31], v[12:13], s[20:21]
	v_fma_f64 v[2:3], v[20:21], s[22:23], -v[2:3]
	v_fma_f64 v[20:21], v[18:19], s[6:7], v[22:23]
	v_fma_f64 v[22:23], v[18:19], s[6:7], -v[22:23]
	v_mul_f64 v[32:33], v[12:13], s[34:35]
	v_add_f64 v[0:1], v[164:165], v[0:1]
	v_add_f64 v[10:11], v[164:165], v[10:11]
	;; [unrolled: 1-line block ×4, first 2 shown]
	v_fma_f64 v[34:35], v[18:19], s[18:19], v[30:31]
	v_add_f64 v[4:5], v[20:21], v[4:5]
	v_fma_f64 v[20:21], v[18:19], s[18:19], -v[30:31]
	v_mul_f64 v[30:31], v[12:13], s[30:31]
	v_add_f64 v[8:9], v[22:23], v[8:9]
	v_add_f64 v[22:23], v[78:79], -v[140:141]
	v_fma_f64 v[38:39], v[18:19], s[22:23], v[32:33]
	v_mul_f64 v[12:13], v[12:13], s[28:29]
	v_fma_f64 v[32:33], v[18:19], s[22:23], -v[32:33]
	v_add_f64 v[24:25], v[164:165], v[24:25]
	v_add_f64 v[14:15], v[164:165], v[14:15]
	;; [unrolled: 1-line block ×5, first 2 shown]
	v_fma_f64 v[20:21], v[18:19], s[16:17], v[30:31]
	v_add_f64 v[34:35], v[68:69], v[36:37]
	v_mul_f64 v[36:37], v[22:23], s[14:15]
	v_add_f64 v[16:17], v[38:39], v[16:17]
	v_fma_f64 v[30:31], v[18:19], s[16:17], -v[30:31]
	v_fma_f64 v[38:39], v[18:19], s[4:5], v[12:13]
	v_add_f64 v[6:7], v[32:33], v[6:7]
	v_mul_f64 v[32:33], v[22:23], s[34:35]
	v_fma_f64 v[12:13], v[18:19], s[4:5], -v[12:13]
	v_add_f64 v[20:21], v[20:21], v[24:25]
	v_fma_f64 v[18:19], v[34:35], s[16:17], v[36:37]
	v_fma_f64 v[24:25], v[34:35], s[16:17], -v[36:37]
	v_add_f64 v[14:15], v[30:31], v[14:15]
	v_mul_f64 v[30:31], v[22:23], s[36:37]
	v_add_f64 v[28:29], v[28:29], v[46:47]
	v_fma_f64 v[36:37], v[34:35], s[22:23], v[32:33]
	v_fma_f64 v[32:33], v[34:35], s[22:23], -v[32:33]
	v_add_f64 v[2:3], v[12:13], v[2:3]
	v_add_f64 v[12:13], v[44:45], -v[104:105]
	v_add_f64 v[4:5], v[18:19], v[4:5]
	v_add_f64 v[8:9], v[24:25], v[8:9]
	v_mul_f64 v[18:19], v[22:23], s[10:11]
	v_fma_f64 v[24:25], v[34:35], s[6:7], v[30:31]
	v_fma_f64 v[30:31], v[34:35], s[6:7], -v[30:31]
	v_add_f64 v[10:11], v[32:33], v[10:11]
	v_add_f64 v[26:27], v[164:165], v[26:27]
	v_mul_f64 v[32:33], v[12:13], s[20:21]
	v_mul_f64 v[22:23], v[22:23], s[20:21]
	v_add_f64 v[0:1], v[36:37], v[0:1]
	v_fma_f64 v[36:37], v[34:35], s[4:5], v[18:19]
	v_add_f64 v[16:17], v[24:25], v[16:17]
	v_fma_f64 v[18:19], v[34:35], s[4:5], -v[18:19]
	v_mul_f64 v[24:25], v[12:13], s[30:31]
	v_add_f64 v[6:7], v[30:31], v[6:7]
	v_fma_f64 v[30:31], v[28:29], s[18:19], v[32:33]
	v_add_f64 v[26:27], v[38:39], v[26:27]
	v_fma_f64 v[38:39], v[34:35], s[18:19], v[22:23]
	v_fma_f64 v[22:23], v[34:35], s[18:19], -v[22:23]
	v_mul_f64 v[34:35], v[12:13], s[10:11]
	v_add_f64 v[14:15], v[18:19], v[14:15]
	v_fma_f64 v[18:19], v[28:29], s[16:17], v[24:25]
	v_fma_f64 v[32:33], v[28:29], s[18:19], -v[32:33]
	v_add_f64 v[4:5], v[30:31], v[4:5]
	v_add_f64 v[30:31], v[64:65], -v[114:115]
	v_add_f64 v[20:21], v[36:37], v[20:21]
	v_add_f64 v[2:3], v[22:23], v[2:3]
	v_mul_f64 v[22:23], v[12:13], s[24:25]
	v_add_f64 v[26:27], v[38:39], v[26:27]
	v_add_f64 v[0:1], v[18:19], v[0:1]
	v_fma_f64 v[18:19], v[28:29], s[16:17], -v[24:25]
	v_fma_f64 v[24:25], v[28:29], s[4:5], v[34:35]
	v_mul_f64 v[12:13], v[12:13], s[36:37]
	v_add_f64 v[36:37], v[50:51], v[40:41]
	v_mul_f64 v[38:39], v[30:31], s[24:25]
	v_add_f64 v[8:9], v[32:33], v[8:9]
	v_fma_f64 v[32:33], v[28:29], s[4:5], -v[34:35]
	v_fma_f64 v[34:35], v[28:29], s[22:23], v[22:23]
	v_fma_f64 v[22:23], v[28:29], s[22:23], -v[22:23]
	v_add_f64 v[10:11], v[18:19], v[10:11]
	v_add_f64 v[16:17], v[24:25], v[16:17]
	v_fma_f64 v[18:19], v[28:29], s[6:7], v[12:13]
	v_fma_f64 v[12:13], v[28:29], s[6:7], -v[12:13]
	v_fma_f64 v[24:25], v[36:37], s[22:23], v[38:39]
	v_mul_f64 v[28:29], v[30:31], s[28:29]
	v_add_f64 v[20:21], v[34:35], v[20:21]
	v_add_f64 v[14:15], v[22:23], v[14:15]
	v_fma_f64 v[22:23], v[36:37], s[22:23], -v[38:39]
	v_add_f64 v[6:7], v[32:33], v[6:7]
	v_add_f64 v[18:19], v[18:19], v[26:27]
	;; [unrolled: 1-line block ×3, first 2 shown]
	v_mul_f64 v[12:13], v[30:31], s[36:37]
	v_add_f64 v[78:79], v[24:25], v[4:5]
	v_mul_f64 v[4:5], v[30:31], s[14:15]
	v_mul_f64 v[26:27], v[30:31], s[20:21]
	v_add_f64 v[86:87], v[22:23], v[8:9]
	v_fma_f64 v[8:9], v[36:37], s[4:5], v[28:29]
	v_fma_f64 v[22:23], v[36:37], s[4:5], -v[28:29]
	v_add_u32_e32 v131, 0x800, v230
	v_fma_f64 v[28:29], v[36:37], s[6:7], v[12:13]
	v_fma_f64 v[12:13], v[36:37], s[6:7], -v[12:13]
	v_fma_f64 v[30:31], v[36:37], s[16:17], v[4:5]
	v_fma_f64 v[24:25], v[36:37], s[18:19], v[26:27]
	v_fma_f64 v[26:27], v[36:37], s[18:19], -v[26:27]
	v_fma_f64 v[4:5], v[36:37], s[16:17], -v[4:5]
	v_add_f64 v[88:89], v[8:9], v[0:1]
	v_add_u32_e32 v132, 0x1400, v230
	v_add_u32_e32 v130, 0x2000, v230
	;; [unrolled: 1-line block ×6, first 2 shown]
	v_lshl_add_u32 v0, v227, 3, 0
	v_add_f64 v[104:105], v[22:23], v[10:11]
	v_add_f64 v[162:163], v[28:29], v[20:21]
	v_add_f64 v[164:165], v[12:13], v[14:15]
	v_add_f64 v[166:167], v[30:31], v[18:19]
	ds_read_b64 v[72:73], v230
	ds_read2_b64 v[56:59], v131 offset0:129 offset1:184
	ds_read2_b64 v[12:15], v132 offset0:75 offset1:130
	;; [unrolled: 1-line block ×6, first 2 shown]
	ds_read_b64 v[68:69], v231
	ds_read2_b64 v[40:43], v136 offset0:111 offset1:166
	ds_read2_b64 v[36:39], v137 offset0:113 offset1:168
	ds_read_b64 v[66:67], v228
	ds_read2_b64 v[32:35], v124 offset0:167 offset1:222
	ds_read2_b64 v[28:31], v125 offset0:169 offset1:224
	ds_read_b64 v[70:71], v232
	ds_read_b64 v[64:65], v0
	v_mov_b32_e32 v133, v0
	v_lshl_add_u32 v0, v224, 3, 0
	v_add_u32_e32 v138, 0x1000, v230
	v_add_u32_e32 v139, 0x2800, v230
	;; [unrolled: 1-line block ×4, first 2 shown]
	v_add_f64 v[148:149], v[24:25], v[16:17]
	v_add_f64 v[152:153], v[26:27], v[6:7]
	;; [unrolled: 1-line block ×3, first 2 shown]
	ds_read2_b64 v[24:27], v138 offset0:93 offset1:148
	ds_read2_b64 v[20:23], v139 offset0:95 offset1:150
	;; [unrolled: 1-line block ×5, first 2 shown]
	s_waitcnt lgkmcnt(0)
	; wave barrier
	s_waitcnt lgkmcnt(0)
	ds_write2_b64 v190, v[102:103], v[106:107] offset1:7
	ds_write2_b64 v190, v[122:123], v[134:135] offset0:14 offset1:21
	ds_write2_b64 v190, v[146:147], v[154:155] offset0:28 offset1:35
	ds_write2_b64 v190, v[158:159], v[150:151] offset0:42 offset1:49
	ds_write2_b64 v190, v[142:143], v[118:119] offset0:56 offset1:63
	ds_write_b64 v190, v[96:97] offset:560
	ds_write2_b64 v191, v[156:157], v[60:61] offset1:7
	ds_write2_b64 v191, v[74:75], v[84:85] offset0:14 offset1:21
	ds_write2_b64 v191, v[94:95], v[108:109] offset0:28 offset1:35
	ds_write2_b64 v191, v[112:113], v[98:99] offset0:42 offset1:49
	ds_write2_b64 v191, v[92:93], v[76:77] offset0:56 offset1:63
	ds_write_b64 v191, v[62:63] offset:560
	;; [unrolled: 6-line block ×3, first 2 shown]
	s_and_saveexec_b64 s[4:5], s[0:1]
	s_cbranch_execz .LBB0_21
; %bb.20:
	buffer_load_dword v122, off, s[40:43], 0 offset:24 ; 4-byte Folded Reload
	buffer_load_dword v123, off, s[40:43], 0 offset:28 ; 4-byte Folded Reload
	v_add_f64 v[74:75], v[182:183], -v[204:205]
	s_mov_b32 s20, 0xf8bb580b
	s_mov_b32 s21, 0xbfe14ced
	;; [unrolled: 1-line block ×4, first 2 shown]
	v_add_f64 v[62:63], v[184:185], v[198:199]
	v_add_f64 v[78:79], v[116:117], -v[202:203]
	s_mov_b32 s0, 0x8764f0ba
	v_mul_f64 v[84:85], v[74:75], s[20:21]
	v_mul_f64 v[86:87], v[74:75], s[10:11]
	s_mov_b32 s16, 0x43842ef
	s_mov_b32 s22, 0xbb3a28a1
	;; [unrolled: 1-line block ×7, first 2 shown]
	v_add_f64 v[76:77], v[120:121], v[200:201]
	v_mul_f64 v[88:89], v[74:75], s[16:17]
	v_mul_f64 v[92:93], v[74:75], s[22:23]
	;; [unrolled: 1-line block ×5, first 2 shown]
	v_fma_f64 v[104:105], v[62:63], s[0:1], v[84:85]
	v_fma_f64 v[84:85], v[62:63], s[0:1], -v[84:85]
	v_fma_f64 v[106:107], v[62:63], s[6:7], v[86:87]
	v_fma_f64 v[86:87], v[62:63], s[6:7], -v[86:87]
	s_mov_b32 s14, 0x640f44db
	s_mov_b32 s24, 0x9bcd5057
	;; [unrolled: 1-line block ×6, first 2 shown]
	v_mul_f64 v[98:99], v[78:79], s[34:35]
	v_mul_f64 v[102:103], v[78:79], s[30:31]
	v_fma_f64 v[108:109], v[62:63], s[14:15], v[88:89]
	v_fma_f64 v[88:89], v[62:63], s[14:15], -v[88:89]
	v_fma_f64 v[112:113], v[62:63], s[18:19], v[92:93]
	v_fma_f64 v[92:93], v[62:63], s[18:19], -v[92:93]
	;; [unrolled: 2-line block ×4, first 2 shown]
	v_fma_f64 v[118:119], v[76:77], s[18:19], v[96:97]
	v_add_f64 v[104:105], v[128:129], v[104:105]
	v_add_f64 v[84:85], v[128:129], v[84:85]
	;; [unrolled: 1-line block ×4, first 2 shown]
	v_fma_f64 v[96:97], v[76:77], s[18:19], -v[96:97]
	v_add_f64 v[90:91], v[90:91], -v[188:189]
	s_mov_b32 s28, s20
	v_add_f64 v[108:109], v[128:129], v[108:109]
	v_add_f64 v[74:75], v[74:75], v[104:105]
	v_add_f64 v[84:85], v[94:95], v[84:85]
	v_add_f64 v[94:95], v[118:119], v[106:107]
	v_fma_f64 v[104:105], v[76:77], s[24:25], v[98:99]
	v_mul_f64 v[78:79], v[78:79], s[28:29]
	v_fma_f64 v[106:107], v[76:77], s[14:15], v[102:103]
	v_add_f64 v[86:87], v[96:97], v[86:87]
	v_fma_f64 v[96:97], v[76:77], s[14:15], -v[102:103]
	v_mul_f64 v[118:119], v[90:91], s[16:17]
	v_fma_f64 v[98:99], v[76:77], s[24:25], -v[98:99]
	buffer_load_dword v114, off, s[40:43], 0 offset:8 ; 4-byte Folded Reload
	buffer_load_dword v115, off, s[40:43], 0 offset:12 ; 4-byte Folded Reload
	v_add_f64 v[104:105], v[104:105], v[108:109]
	v_fma_f64 v[108:109], v[76:77], s[0:1], v[78:79]
	v_fma_f64 v[76:77], v[76:77], s[0:1], -v[78:79]
	v_add_f64 v[60:61], v[128:129], v[184:185]
	v_add_f64 v[88:89], v[128:129], v[88:89]
	;; [unrolled: 1-line block ×4, first 2 shown]
	s_mov_b32 s11, 0x3fed1bb4
	v_add_f64 v[116:117], v[128:129], v[116:117]
	v_add_f64 v[62:63], v[128:129], v[62:63]
	v_add_f64 v[100:101], v[100:101], -v[110:111]
	v_add_f64 v[60:61], v[60:61], v[120:121]
	v_add_f64 v[88:89], v[98:99], v[88:89]
	v_add_f64 v[98:99], v[106:107], v[112:113]
	v_mul_f64 v[106:107], v[90:91], s[34:35]
	v_add_f64 v[92:93], v[96:97], v[92:93]
	s_waitcnt vmcnt(2)
	v_add_f64 v[102:103], v[122:123], v[186:187]
	v_mul_f64 v[112:113], v[90:91], s[10:11]
	v_add_f64 v[108:109], v[108:109], v[116:117]
	v_add_f64 v[60:61], v[60:61], v[122:123]
	;; [unrolled: 1-line block ×3, first 2 shown]
	v_fma_f64 v[78:79], v[102:103], s[14:15], v[118:119]
	v_fma_f64 v[96:97], v[102:103], s[14:15], -v[118:119]
	v_fma_f64 v[116:117], v[102:103], s[24:25], v[106:107]
	v_fma_f64 v[106:107], v[102:103], s[24:25], -v[106:107]
	v_add_f64 v[74:75], v[78:79], v[74:75]
	buffer_load_dword v78, off, s[40:43], 0 offset:16 ; 4-byte Folded Reload
	buffer_load_dword v79, off, s[40:43], 0 offset:20 ; 4-byte Folded Reload
	v_add_f64 v[76:77], v[96:97], v[84:85]
	v_mul_f64 v[84:85], v[90:91], s[20:21]
	v_fma_f64 v[96:97], v[102:103], s[6:7], v[112:113]
	v_mul_f64 v[90:91], v[90:91], s[22:23]
	v_add_f64 v[94:95], v[116:117], v[94:95]
	v_add_f64 v[86:87], v[106:107], v[86:87]
	v_fma_f64 v[106:107], v[102:103], s[6:7], -v[112:113]
	v_fma_f64 v[118:119], v[102:103], s[0:1], v[84:85]
	v_add_f64 v[96:97], v[96:97], v[104:105]
	v_fma_f64 v[84:85], v[102:103], s[0:1], -v[84:85]
	v_fma_f64 v[120:121], v[102:103], s[18:19], v[90:91]
	v_fma_f64 v[90:91], v[102:103], s[18:19], -v[90:91]
	v_add_f64 v[88:89], v[106:107], v[88:89]
	v_add_f64 v[98:99], v[118:119], v[98:99]
	;; [unrolled: 1-line block ×5, first 2 shown]
	s_waitcnt vmcnt(2)
	v_add_f64 v[60:61], v[60:61], v[114:115]
	v_add_f64 v[112:113], v[114:115], v[126:127]
	;; [unrolled: 1-line block ×5, first 2 shown]
	v_mul_f64 v[82:83], v[100:101], s[26:27]
	v_add_f64 v[60:61], v[60:61], v[126:127]
	v_add_f64 v[60:61], v[60:61], v[186:187]
	s_waitcnt vmcnt(0)
	v_add_f64 v[78:79], v[78:79], -v[160:161]
	v_add_f64 v[60:61], v[60:61], v[200:201]
	v_mul_f64 v[116:117], v[78:79], s[22:23]
	v_mul_f64 v[104:105], v[78:79], s[30:31]
	;; [unrolled: 1-line block ×3, first 2 shown]
	v_add_f64 v[60:61], v[60:61], v[198:199]
	v_fma_f64 v[102:103], v[112:113], s[18:19], v[116:117]
	v_fma_f64 v[106:107], v[112:113], s[18:19], -v[116:117]
	v_fma_f64 v[92:93], v[112:113], s[14:15], v[104:105]
	v_mul_f64 v[116:117], v[78:79], s[20:21]
	v_mul_f64 v[78:79], v[78:79], s[10:11]
	v_add_f64 v[74:75], v[102:103], v[74:75]
	v_add_f64 v[76:77], v[106:107], v[76:77]
	;; [unrolled: 1-line block ×3, first 2 shown]
	v_fma_f64 v[94:95], v[112:113], s[14:15], -v[104:105]
	v_fma_f64 v[102:103], v[112:113], s[0:1], v[116:117]
	v_fma_f64 v[104:105], v[112:113], s[0:1], -v[116:117]
	v_fma_f64 v[106:107], v[112:113], s[24:25], v[90:91]
	v_fma_f64 v[90:91], v[112:113], s[24:25], -v[90:91]
	v_add_f64 v[86:87], v[94:95], v[86:87]
	v_add_f64 v[94:95], v[102:103], v[96:97]
	v_fma_f64 v[96:97], v[112:113], s[6:7], v[78:79]
	v_fma_f64 v[78:79], v[112:113], s[6:7], -v[78:79]
	v_add_f64 v[88:89], v[104:105], v[88:89]
	v_fma_f64 v[102:103], v[80:81], s[24:25], v[82:83]
	v_add_f64 v[84:85], v[90:91], v[84:85]
	v_fma_f64 v[82:83], v[80:81], s[24:25], -v[82:83]
	v_mul_f64 v[90:91], v[100:101], s[28:29]
	v_mul_f64 v[104:105], v[100:101], s[22:23]
	v_add_f64 v[98:99], v[106:107], v[98:99]
	v_add_f64 v[62:63], v[78:79], v[62:63]
	v_mul_f64 v[78:79], v[100:101], s[10:11]
	v_mul_f64 v[100:101], v[100:101], s[16:17]
	v_add_f64 v[74:75], v[102:103], v[74:75]
	v_add_f64 v[76:77], v[82:83], v[76:77]
	v_fma_f64 v[82:83], v[80:81], s[0:1], v[90:91]
	v_fma_f64 v[90:91], v[80:81], s[0:1], -v[90:91]
	v_fma_f64 v[102:103], v[80:81], s[18:19], v[104:105]
	v_add_f64 v[96:97], v[96:97], v[108:109]
	v_fma_f64 v[106:107], v[80:81], s[6:7], v[78:79]
	v_fma_f64 v[78:79], v[80:81], s[6:7], -v[78:79]
	v_fma_f64 v[108:109], v[80:81], s[14:15], v[100:101]
	v_fma_f64 v[104:105], v[80:81], s[18:19], -v[104:105]
	v_fma_f64 v[80:81], v[80:81], s[14:15], -v[100:101]
	v_add_f64 v[82:83], v[82:83], v[92:93]
	v_add_f64 v[86:87], v[90:91], v[86:87]
	;; [unrolled: 1-line block ×8, first 2 shown]
	v_mov_b32_e32 v81, 3
	v_mul_u32_u24_e32 v80, 0x268, v222
	v_lshlrev_b32_sdwa v81, v81, v223 dst_sel:DWORD dst_unused:UNUSED_PAD src0_sel:DWORD src1_sel:BYTE_0
	v_add3_u32 v80, 0, v80, v81
	ds_write2_b64 v80, v[60:61], v[74:75] offset1:7
	ds_write2_b64 v80, v[82:83], v[90:91] offset0:14 offset1:21
	ds_write2_b64 v80, v[92:93], v[84:85] offset0:28 offset1:35
	;; [unrolled: 1-line block ×4, first 2 shown]
	ds_write_b64 v80, v[76:77] offset:560
.LBB0_21:
	s_or_b64 exec, exec, s[4:5]
	v_lshlrev_b32_e32 v118, 2, v224
	v_mov_b32_e32 v119, 0
	v_lshlrev_b64 v[60:61], 4, v[118:119]
	v_mov_b32_e32 v62, s9
	v_add_co_u32_e64 v116, s[0:1], s8, v60
	v_addc_co_u32_e64 v117, s[0:1], v62, v61, s[0:1]
	s_waitcnt lgkmcnt(0)
	; wave barrier
	s_waitcnt lgkmcnt(0)
	global_load_dwordx4 v[76:79], v[116:117], off offset:1168
	global_load_dwordx4 v[80:83], v[116:117], off offset:1152
	;; [unrolled: 1-line block ×4, first 2 shown]
	v_subrev_u32_e32 v60, 22, v224
	v_cmp_gt_u32_e64 s[0:1], 22, v224
	v_cndmask_b32_e64 v120, v60, v226, s[0:1]
	v_lshlrev_b32_e32 v118, 2, v120
	v_lshlrev_b64 v[60:61], 4, v[118:119]
	v_add_u32_e32 v115, 0x113, v224
	v_add_co_u32_e64 v60, s[0:1], s8, v60
	v_addc_co_u32_e64 v61, s[0:1], v62, v61, s[0:1]
	global_load_dwordx4 v[92:95], v[60:61], off offset:1120
	global_load_dwordx4 v[96:99], v[60:61], off offset:1136
	global_load_dwordx4 v[100:103], v[60:61], off offset:1152
	s_movk_i32 s0, 0xd5
	v_mul_lo_u16_sdwa v63, v225, s0 dst_sel:DWORD dst_unused:UNUSED_PAD src0_sel:BYTE_0 src1_sel:DWORD
	v_lshrrev_b16_e32 v118, 14, v63
	v_mul_lo_u16_e32 v63, 0x4d, v118
	v_mov_b32_e32 v62, 6
	v_sub_u16_e32 v121, v225, v63
	v_lshlrev_b32_sdwa v62, v62, v121 dst_sel:DWORD dst_unused:UNUSED_PAD src0_sel:DWORD src1_sel:BYTE_0
	global_load_dwordx4 v[104:107], v62, s[8:9] offset:1136
	ds_read2_b64 v[108:111], v131 offset0:129 offset1:184
	ds_read2_b64 v[146:149], v132 offset0:75 offset1:130
	global_load_dwordx4 v[150:153], v[60:61], off offset:1168
	ds_read2_b64 v[154:157], v130 offset0:131 offset1:186
	ds_read2_b64 v[158:161], v170 offset0:77 offset1:132
	;; [unrolled: 1-line block ×4, first 2 shown]
	global_load_dwordx4 v[170:173], v62, s[8:9] offset:1120
	global_load_dwordx4 v[174:177], v62, s[8:9] offset:1168
	;; [unrolled: 1-line block ×3, first 2 shown]
	v_mul_lo_u16_sdwa v112, v229, s0 dst_sel:DWORD dst_unused:UNUSED_PAD src0_sel:BYTE_0 src1_sel:DWORD
	v_lshrrev_b16_e32 v112, 14, v112
	v_mul_lo_u16_e32 v112, 0x4d, v112
	v_sub_u16_e32 v112, v229, v112
	v_and_b32_e32 v122, 0xff, v112
	v_lshlrev_b32_e32 v112, 6, v122
	ds_read_b64 v[74:75], v232
	ds_read_b64 v[62:63], v231
	ds_read2_b64 v[182:185], v136 offset0:111 offset1:166
	ds_read2_b64 v[186:189], v137 offset0:113 offset1:168
	ds_read_b64 v[60:61], v228
	global_load_dwordx4 v[190:193], v112, s[8:9] offset:1136
	global_load_dwordx4 v[194:197], v112, s[8:9] offset:1120
	s_movk_i32 s0, 0x1a99
	v_mul_u32_u24_sdwa v113, v227, s0 dst_sel:DWORD dst_unused:UNUSED_PAD src0_sel:WORD_0 src1_sel:DWORD
	v_lshrrev_b32_e32 v126, 19, v113
	v_mul_lo_u16_e32 v113, 0x4d, v126
	v_sub_u16_e32 v127, v227, v113
	v_lshlrev_b32_e32 v113, 6, v127
	global_load_dwordx4 v[198:201], v112, s[8:9] offset:1168
	global_load_dwordx4 v[202:205], v112, s[8:9] offset:1152
	;; [unrolled: 1-line block ×6, first 2 shown]
	v_mul_u32_u24_sdwa v114, v115, s0 dst_sel:DWORD dst_unused:UNUSED_PAD src0_sel:WORD_0 src1_sel:DWORD
	v_lshrrev_b32_e32 v123, 19, v114
	v_mul_lo_u16_e32 v114, 0x4d, v123
	v_add_u32_e32 v233, 0x14a, v224
	v_mov_b32_e32 v131, v232
	v_mov_b32_e32 v132, v231
	s_mov_b32 s4, 0x134454ff
	s_mov_b32 s5, 0x3fee6f0e
	;; [unrolled: 1-line block ×10, first 2 shown]
	s_waitcnt vmcnt(19) lgkmcnt(7)
	v_mul_f64 v[142:143], v[160:161], v[78:79]
	s_waitcnt vmcnt(18)
	v_mul_f64 v[134:135], v[154:155], v[82:83]
	s_waitcnt vmcnt(17)
	v_mul_f64 v[128:129], v[148:149], v[86:87]
	v_mul_f64 v[86:87], v[14:15], v[86:87]
	;; [unrolled: 1-line block ×3, first 2 shown]
	s_waitcnt vmcnt(16)
	v_mul_f64 v[112:113], v[108:109], v[90:91]
	v_mul_f64 v[78:79], v[10:11], v[78:79]
	;; [unrolled: 1-line block ×3, first 2 shown]
	v_fma_f64 v[142:143], v[10:11], v[76:77], -v[142:143]
	v_fma_f64 v[134:135], v[48:49], v[80:81], -v[134:135]
	;; [unrolled: 1-line block ×3, first 2 shown]
	v_sub_u16_e32 v128, v115, v114
	v_lshlrev_b32_e32 v14, 6, v128
	v_fma_f64 v[84:85], v[148:149], v[84:85], v[86:87]
	s_waitcnt vmcnt(14) lgkmcnt(6)
	v_mul_f64 v[238:239], v[162:163], v[98:99]
	v_fma_f64 v[148:149], v[154:155], v[80:81], v[82:83]
	global_load_dwordx4 v[80:83], v14, s[8:9] offset:1136
	global_load_dwordx4 v[234:237], v14, s[8:9] offset:1120
	v_mul_f64 v[218:219], v[110:111], v[94:95]
	v_mul_f64 v[94:95], v[58:59], v[94:95]
	;; [unrolled: 1-line block ×3, first 2 shown]
	s_waitcnt vmcnt(15)
	v_mul_f64 v[48:49], v[50:51], v[102:103]
	v_fma_f64 v[254:255], v[56:57], v[88:89], -v[112:113]
	v_fma_f64 v[114:115], v[52:53], v[96:97], -v[238:239]
	global_load_dwordx4 v[238:241], v14, s[8:9] offset:1168
	global_load_dwordx4 v[242:245], v14, s[8:9] offset:1152
	v_mul_f64 v[14:15], v[156:157], v[102:103]
	v_mul_u32_u24_sdwa v56, v233, s0 dst_sel:DWORD dst_unused:UNUSED_PAD src0_sel:WORD_0 src1_sel:DWORD
	v_lshrrev_b32_e32 v56, 19, v56
	v_mul_lo_u16_e32 v56, 0x4d, v56
	v_sub_u16_e32 v129, v233, v56
	v_fma_f64 v[154:155], v[160:161], v[76:77], v[78:79]
	v_lshlrev_b32_e32 v76, 6, v129
	v_fma_f64 v[160:161], v[58:59], v[92:93], -v[218:219]
	global_load_dwordx4 v[246:249], v76, s[8:9] offset:1136
	global_load_dwordx4 v[250:253], v76, s[8:9] offset:1120
	ds_read2_b64 v[56:59], v124 offset0:167 offset1:222
	buffer_store_dword v225, off, s[40:43], 0 offset:16 ; 4-byte Folded Spill
	buffer_store_dword v226, off, s[40:43], 0 offset:8 ; 4-byte Folded Spill
	;; [unrolled: 1-line block ×3, first 2 shown]
	v_fma_f64 v[218:219], v[110:111], v[92:93], v[94:95]
	v_fma_f64 v[162:163], v[162:163], v[96:97], v[10:11]
	v_fma_f64 v[225:226], v[50:51], v[100:101], -v[14:15]
	v_fma_f64 v[156:157], v[156:157], v[100:101], v[48:49]
	global_load_dwordx4 v[48:51], v76, s[8:9] offset:1168
	global_load_dwordx4 v[94:97], v76, s[8:9] offset:1152
	s_waitcnt vmcnt(23)
	v_mul_f64 v[52:53], v[164:165], v[106:107]
	v_mul_f64 v[10:11], v[54:55], v[106:107]
	s_waitcnt vmcnt(22) lgkmcnt(6)
	v_mul_f64 v[14:15], v[166:167], v[152:153]
	v_mov_b32_e32 v233, v227
	v_mov_b32_e32 v229, v228
	ds_read2_b64 v[76:79], v125 offset0:169 offset1:224
	s_waitcnt vmcnt(19) lgkmcnt(3)
	v_mul_f64 v[86:87], v[186:187], v[180:181]
	ds_read2_b64 v[98:101], v139 offset0:95 offset1:150
	v_fma_f64 v[227:228], v[54:55], v[104:105], -v[52:53]
	v_mul_f64 v[52:53], v[44:45], v[152:153]
	v_fma_f64 v[152:153], v[164:165], v[104:105], v[10:11]
	v_mul_f64 v[10:11], v[40:41], v[172:173]
	v_fma_f64 v[106:107], v[44:45], v[150:151], -v[14:15]
	v_mul_f64 v[14:15], v[36:37], v[180:181]
	v_mul_f64 v[54:55], v[182:183], v[172:173]
	;; [unrolled: 1-line block ×3, first 2 shown]
	ds_read2_b64 v[102:105], v141 offset0:23 offset1:78
	v_fma_f64 v[150:151], v[166:167], v[150:151], v[52:53]
	s_waitcnt vmcnt(16)
	v_mul_f64 v[52:53], v[28:29], v[200:201]
	v_fma_f64 v[166:167], v[182:183], v[170:171], v[10:11]
	v_mul_f64 v[10:11], v[46:47], v[176:177]
	v_fma_f64 v[172:173], v[186:187], v[178:179], v[14:15]
	v_mul_f64 v[14:15], v[184:185], v[196:197]
	v_fma_f64 v[164:165], v[40:41], v[170:171], -v[54:55]
	v_fma_f64 v[176:177], v[46:47], v[174:175], -v[44:45]
	s_waitcnt lgkmcnt(3)
	v_mul_f64 v[40:41], v[56:57], v[192:193]
	ds_read2_b64 v[44:47], v138 offset0:93 offset1:148
	v_fma_f64 v[170:171], v[36:37], v[178:179], -v[86:87]
	v_fma_f64 v[168:169], v[168:169], v[174:175], v[10:11]
	v_mul_f64 v[10:11], v[32:33], v[192:193]
	v_fma_f64 v[174:175], v[42:43], v[194:195], -v[14:15]
	s_waitcnt vmcnt(15)
	v_mul_f64 v[14:15], v[188:189], v[204:205]
	v_mul_f64 v[36:37], v[42:43], v[196:197]
	v_fma_f64 v[180:181], v[32:33], v[190:191], -v[40:41]
	v_mul_f64 v[32:33], v[38:39], v[204:205]
	v_fma_f64 v[231:232], v[108:109], v[88:89], v[90:91]
	s_waitcnt lgkmcnt(3)
	v_fma_f64 v[108:109], v[76:77], v[198:199], v[52:53]
	v_fma_f64 v[112:113], v[56:57], v[190:191], v[10:11]
	v_mul_f64 v[10:11], v[76:77], v[200:201]
	s_waitcnt vmcnt(11) lgkmcnt(0)
	v_mul_f64 v[56:57], v[44:45], v[222:223]
	v_fma_f64 v[182:183], v[38:39], v[202:203], -v[14:15]
	v_mul_f64 v[14:15], v[24:25], v[222:223]
	v_fma_f64 v[110:111], v[184:185], v[194:195], v[36:37]
	v_fma_f64 v[184:185], v[188:189], v[202:203], v[32:33]
	v_mul_f64 v[32:33], v[20:21], v[212:213]
	ds_read2_b64 v[36:39], v130 offset0:21 offset1:76
	v_fma_f64 v[186:187], v[28:29], v[198:199], -v[10:11]
	v_mul_f64 v[10:11], v[58:59], v[216:217]
	v_fma_f64 v[92:93], v[24:25], v[220:221], -v[56:57]
	v_mul_f64 v[24:25], v[34:35], v[216:217]
	v_fma_f64 v[56:57], v[44:45], v[220:221], v[14:15]
	v_mul_f64 v[14:15], v[78:79], v[208:209]
	v_mul_f64 v[44:45], v[30:31], v[208:209]
	v_mul_f64 v[28:29], v[98:99], v[212:213]
	v_fma_f64 v[76:77], v[98:99], v[210:211], v[32:33]
	v_fma_f64 v[86:87], v[34:35], v[214:215], -v[10:11]
	s_waitcnt vmcnt(9)
	v_mul_f64 v[10:11], v[46:47], v[236:237]
	v_fma_f64 v[58:59], v[58:59], v[214:215], v[24:25]
	s_waitcnt lgkmcnt(0)
	v_mul_f64 v[24:25], v[36:37], v[82:83]
	v_fma_f64 v[90:91], v[30:31], v[206:207], -v[14:15]
	v_fma_f64 v[78:79], v[78:79], v[206:207], v[44:45]
	v_mul_f64 v[14:15], v[26:27], v[236:237]
	v_mul_f64 v[30:31], v[16:17], v[82:83]
	s_waitcnt vmcnt(7)
	v_mul_f64 v[32:33], v[100:101], v[244:245]
	v_mul_f64 v[44:45], v[22:23], v[244:245]
	v_fma_f64 v[34:35], v[26:27], v[234:235], -v[10:11]
	v_mul_f64 v[10:11], v[102:103], v[240:241]
	v_fma_f64 v[88:89], v[20:21], v[210:211], -v[28:29]
	v_fma_f64 v[28:29], v[16:17], v[80:81], -v[24:25]
	v_fma_f64 v[20:21], v[46:47], v[234:235], v[14:15]
	v_fma_f64 v[24:25], v[36:37], v[80:81], v[30:31]
	v_fma_f64 v[30:31], v[22:23], v[242:243], -v[32:33]
	v_fma_f64 v[22:23], v[100:101], v[242:243], v[44:45]
	s_waitcnt vmcnt(5)
	v_mul_f64 v[14:15], v[146:147], v[252:253]
	v_fma_f64 v[52:53], v[4:5], v[238:239], -v[10:11]
	v_mul_f64 v[10:11], v[38:39], v[248:249]
	v_add_f64 v[16:17], v[72:73], v[254:255]
	v_mul_f64 v[32:33], v[18:19], v[248:249]
	v_add_f64 v[36:37], v[144:145], v[134:135]
	s_waitcnt vmcnt(0)
	v_mul_f64 v[44:45], v[158:159], v[96:97]
	v_mul_f64 v[26:27], v[4:5], v[240:241]
	;; [unrolled: 1-line block ×3, first 2 shown]
	v_fma_f64 v[12:13], v[12:13], v[250:251], -v[14:15]
	v_mul_f64 v[46:47], v[8:9], v[96:97]
	v_fma_f64 v[14:15], v[18:19], v[246:247], -v[10:11]
	v_add_f64 v[18:19], v[16:17], v[144:145]
	v_fma_f64 v[10:11], v[38:39], v[246:247], v[32:33]
	v_fma_f64 v[36:37], v[36:37], -0.5, v[72:73]
	v_add_f64 v[38:39], v[231:232], -v[154:155]
	v_fma_f64 v[16:17], v[8:9], v[94:95], -v[44:45]
	v_mul_f64 v[44:45], v[6:7], v[50:51]
	v_add_f64 v[82:83], v[254:255], v[142:143]
	v_fma_f64 v[8:9], v[158:159], v[94:95], v[46:47]
	v_mul_f64 v[32:33], v[104:105], v[50:51]
	v_add_f64 v[46:47], v[18:19], v[134:135]
	v_add_f64 v[80:81], v[84:85], -v[148:149]
	v_fma_f64 v[50:51], v[38:39], s[4:5], v[36:37]
	v_add_f64 v[94:95], v[254:255], -v[144:145]
	v_add_f64 v[96:97], v[142:143], -v[134:135]
	v_fma_f64 v[18:19], v[104:105], v[48:49], v[44:45]
	v_fma_f64 v[44:45], v[82:83], -0.5, v[72:73]
	v_fma_f64 v[32:33], v[6:7], v[48:49], -v[32:33]
	v_add_f64 v[6:7], v[46:47], v[142:143]
	v_fma_f64 v[36:37], v[38:39], s[10:11], v[36:37]
	v_fma_f64 v[46:47], v[80:81], s[6:7], v[50:51]
	v_add_f64 v[50:51], v[84:85], v[148:149]
	v_add_f64 v[48:49], v[94:95], v[96:97]
	v_add_f64 v[82:83], v[144:145], -v[254:255]
	v_fma_f64 v[72:73], v[80:81], s[10:11], v[44:45]
	v_add_f64 v[94:95], v[134:135], -v[142:143]
	ds_read_b64 v[178:179], v230
	ds_read_b64 v[54:55], v133
	v_fma_f64 v[44:45], v[80:81], s[4:5], v[44:45]
	v_add_f64 v[100:101], v[254:255], -v[142:143]
	v_fma_f64 v[36:37], v[80:81], s[14:15], v[36:37]
	s_waitcnt lgkmcnt(1)
	v_add_f64 v[96:97], v[178:179], v[231:232]
	v_fma_f64 v[98:99], v[50:51], -0.5, v[178:179]
	v_fma_f64 v[50:51], v[38:39], s[6:7], v[72:73]
	v_add_f64 v[72:73], v[82:83], v[94:95]
	v_add_f64 v[82:83], v[231:232], v[154:155]
	v_fma_f64 v[38:39], v[38:39], s[14:15], v[44:45]
	v_fma_f64 v[26:27], v[102:103], v[238:239], v[26:27]
	;; [unrolled: 1-line block ×3, first 2 shown]
	v_add_f64 v[80:81], v[96:97], v[84:85]
	v_fma_f64 v[94:95], v[100:101], s[10:11], v[98:99]
	v_add_f64 v[96:97], v[144:145], -v[134:135]
	v_fma_f64 v[46:47], v[48:49], s[16:17], v[46:47]
	v_fma_f64 v[36:37], v[82:83], -0.5, v[178:179]
	v_fma_f64 v[48:49], v[72:73], s[16:17], v[50:51]
	v_fma_f64 v[50:51], v[72:73], s[16:17], v[38:39]
	v_add_f64 v[82:83], v[114:115], v[225:226]
	v_add_f64 v[38:39], v[80:81], v[148:149]
	v_add_f64 v[80:81], v[231:232], -v[84:85]
	v_fma_f64 v[72:73], v[96:97], s[14:15], v[94:95]
	v_add_f64 v[94:95], v[154:155], -v[148:149]
	v_fma_f64 v[98:99], v[100:101], s[4:5], v[98:99]
	v_fma_f64 v[102:103], v[96:97], s[4:5], v[36:37]
	;; [unrolled: 1-line block ×3, first 2 shown]
	v_add_f64 v[84:85], v[84:85], -v[231:232]
	v_add_f64 v[104:105], v[148:149], -v[154:155]
	v_add_f64 v[134:135], v[70:71], v[160:161]
	v_fma_f64 v[142:143], v[82:83], -0.5, v[70:71]
	v_add_f64 v[144:145], v[218:219], -v[150:151]
	v_add_f64 v[82:83], v[80:81], v[94:95]
	v_fma_f64 v[94:95], v[96:97], s[6:7], v[98:99]
	v_fma_f64 v[96:97], v[100:101], s[14:15], v[102:103]
	;; [unrolled: 1-line block ×3, first 2 shown]
	v_add_f64 v[100:101], v[160:161], v[106:107]
	v_add_f64 v[84:85], v[84:85], v[104:105]
	;; [unrolled: 1-line block ×3, first 2 shown]
	v_fma_f64 v[104:105], v[144:145], s[4:5], v[142:143]
	v_add_f64 v[134:135], v[162:163], -v[156:157]
	v_fma_f64 v[4:5], v[146:147], v[250:251], v[4:5]
	v_add_f64 v[36:37], v[38:39], v[154:155]
	v_fma_f64 v[80:81], v[82:83], s[16:17], v[72:73]
	v_fma_f64 v[70:71], v[100:101], -0.5, v[70:71]
	v_fma_f64 v[38:39], v[82:83], s[16:17], v[94:95]
	v_fma_f64 v[82:83], v[84:85], s[16:17], v[96:97]
	;; [unrolled: 1-line block ×3, first 2 shown]
	v_add_f64 v[72:73], v[102:103], v[225:226]
	v_fma_f64 v[94:95], v[134:135], s[6:7], v[104:105]
	v_add_f64 v[96:97], v[160:161], -v[114:115]
	v_add_f64 v[98:99], v[162:163], v[156:157]
	v_add_f64 v[100:101], v[106:107], -v[225:226]
	v_fma_f64 v[102:103], v[144:145], s[10:11], v[142:143]
	v_fma_f64 v[104:105], v[134:135], s[10:11], v[70:71]
	v_add_f64 v[142:143], v[114:115], -v[160:161]
	v_add_f64 v[146:147], v[225:226], -v[106:107]
	v_fma_f64 v[70:71], v[134:135], s[4:5], v[70:71]
	v_add_f64 v[148:149], v[74:75], v[218:219]
	v_fma_f64 v[98:99], v[98:99], -0.5, v[74:75]
	v_add_f64 v[154:155], v[160:161], -v[106:107]
	v_add_f64 v[96:97], v[96:97], v[100:101]
	v_fma_f64 v[100:101], v[134:135], s[14:15], v[102:103]
	v_fma_f64 v[102:103], v[144:145], s[6:7], v[104:105]
	v_add_f64 v[134:135], v[142:143], v[146:147]
	v_fma_f64 v[142:143], v[144:145], s[14:15], v[70:71]
	v_add_f64 v[144:145], v[218:219], v[150:151]
	v_add_f64 v[146:147], v[148:149], v[162:163]
	v_fma_f64 v[148:149], v[154:155], s[10:11], v[98:99]
	v_add_f64 v[114:115], v[114:115], -v[225:226]
	v_fma_f64 v[104:105], v[96:97], s[16:17], v[94:95]
	v_add_f64 v[70:71], v[72:73], v[106:107]
	v_fma_f64 v[72:73], v[96:97], s[16:17], v[100:101]
	v_fma_f64 v[106:107], v[134:135], s[16:17], v[102:103]
	v_fma_f64 v[94:95], v[144:145], -0.5, v[74:75]
	v_fma_f64 v[74:75], v[134:135], s[16:17], v[142:143]
	v_add_f64 v[96:97], v[146:147], v[156:157]
	v_fma_f64 v[100:101], v[114:115], s[14:15], v[148:149]
	v_add_f64 v[102:103], v[218:219], -v[162:163]
	v_add_f64 v[134:135], v[227:228], v[170:171]
	v_add_f64 v[142:143], v[150:151], -v[156:157]
	v_add_f64 v[146:147], v[162:163], -v[218:219]
	v_fma_f64 v[144:145], v[114:115], s[4:5], v[94:95]
	v_add_f64 v[148:149], v[156:157], -v[150:151]
	v_fma_f64 v[98:99], v[154:155], s[4:5], v[98:99]
	v_fma_f64 v[94:95], v[114:115], s[10:11], v[94:95]
	v_add_f64 v[156:157], v[68:69], v[164:165]
	v_fma_f64 v[134:135], v[134:135], -0.5, v[68:69]
	v_add_f64 v[158:159], v[166:167], -v[168:169]
	v_add_f64 v[102:103], v[102:103], v[142:143]
	v_fma_f64 v[142:143], v[154:155], s[14:15], v[144:145]
	v_add_f64 v[144:145], v[146:147], v[148:149]
	v_add_f64 v[148:149], v[164:165], v[176:177]
	v_fma_f64 v[114:115], v[114:115], s[6:7], v[98:99]
	v_fma_f64 v[146:147], v[154:155], s[6:7], v[94:95]
	v_add_f64 v[154:155], v[156:157], v[227:228]
	v_fma_f64 v[156:157], v[158:159], s[4:5], v[134:135]
	v_add_f64 v[160:161], v[152:153], -v[172:173]
	v_add_f64 v[94:95], v[96:97], v[150:151]
	v_fma_f64 v[98:99], v[102:103], s[16:17], v[100:101]
	v_fma_f64 v[68:69], v[148:149], -0.5, v[68:69]
	v_fma_f64 v[96:97], v[102:103], s[16:17], v[114:115]
	v_fma_f64 v[100:101], v[144:145], s[16:17], v[142:143]
	;; [unrolled: 1-line block ×3, first 2 shown]
	v_add_f64 v[114:115], v[154:155], v[170:171]
	v_fma_f64 v[142:143], v[160:161], s[6:7], v[156:157]
	v_add_f64 v[144:145], v[164:165], -v[227:228]
	v_add_f64 v[146:147], v[152:153], v[172:173]
	v_add_f64 v[148:149], v[176:177], -v[170:171]
	v_fma_f64 v[134:135], v[158:159], s[10:11], v[134:135]
	v_fma_f64 v[150:151], v[160:161], s[10:11], v[68:69]
	v_add_f64 v[154:155], v[227:228], -v[164:165]
	v_add_f64 v[156:157], v[170:171], -v[176:177]
	v_add_f64 v[162:163], v[62:63], v[166:167]
	v_fma_f64 v[68:69], v[160:161], s[4:5], v[68:69]
	v_fma_f64 v[146:147], v[146:147], -0.5, v[62:63]
	v_add_f64 v[164:165], v[164:165], -v[176:177]
	v_add_f64 v[144:145], v[144:145], v[148:149]
	v_fma_f64 v[134:135], v[160:161], s[14:15], v[134:135]
	v_fma_f64 v[148:149], v[158:159], s[6:7], v[150:151]
	v_add_f64 v[150:151], v[154:155], v[156:157]
	v_add_f64 v[154:155], v[166:167], v[168:169]
	;; [unrolled: 1-line block ×3, first 2 shown]
	v_fma_f64 v[68:69], v[158:159], s[14:15], v[68:69]
	v_fma_f64 v[158:159], v[164:165], s[10:11], v[146:147]
	v_add_f64 v[160:161], v[227:228], -v[170:171]
	v_fma_f64 v[142:143], v[144:145], s[16:17], v[142:143]
	v_fma_f64 v[134:135], v[144:145], s[16:17], v[134:135]
	;; [unrolled: 1-line block ×3, first 2 shown]
	v_fma_f64 v[62:63], v[154:155], -0.5, v[62:63]
	v_add_f64 v[148:149], v[156:157], v[172:173]
	v_add_f64 v[156:157], v[180:181], v[182:183]
	v_fma_f64 v[146:147], v[164:165], s[4:5], v[146:147]
	v_fma_f64 v[68:69], v[150:151], s[16:17], v[68:69]
	v_fma_f64 v[150:151], v[160:161], s[14:15], v[158:159]
	v_add_f64 v[154:155], v[166:167], -v[152:153]
	v_add_f64 v[158:159], v[168:169], -v[172:173]
	v_fma_f64 v[162:163], v[160:161], s[4:5], v[62:63]
	v_add_f64 v[152:153], v[152:153], -v[166:167]
	v_add_f64 v[166:167], v[172:173], -v[168:169]
	v_fma_f64 v[62:63], v[160:161], s[10:11], v[62:63]
	v_add_f64 v[170:171], v[66:67], v[174:175]
	v_fma_f64 v[156:157], v[156:157], -0.5, v[66:67]
	v_add_f64 v[172:173], v[110:111], -v[108:109]
	v_fma_f64 v[146:147], v[160:161], s[6:7], v[146:147]
	v_add_f64 v[160:161], v[174:175], v[186:187]
	v_add_f64 v[154:155], v[154:155], v[158:159]
	v_fma_f64 v[158:159], v[164:165], s[14:15], v[162:163]
	v_add_f64 v[152:153], v[152:153], v[166:167]
	v_fma_f64 v[62:63], v[164:165], s[6:7], v[62:63]
	;; [unrolled: 2-line block ×3, first 2 shown]
	v_add_f64 v[166:167], v[112:113], -v[184:185]
	v_fma_f64 v[66:67], v[160:161], -0.5, v[66:67]
	v_add_f64 v[148:149], v[148:149], v[168:169]
	v_fma_f64 v[150:151], v[154:155], s[16:17], v[150:151]
	v_fma_f64 v[146:147], v[154:155], s[16:17], v[146:147]
	;; [unrolled: 1-line block ×4, first 2 shown]
	v_add_f64 v[62:63], v[162:163], v[182:183]
	v_fma_f64 v[158:159], v[166:167], s[6:7], v[164:165]
	v_add_f64 v[160:161], v[174:175], -v[180:181]
	v_add_f64 v[162:163], v[112:113], v[184:185]
	v_add_f64 v[164:165], v[186:187], -v[182:183]
	v_fma_f64 v[168:169], v[166:167], s[10:11], v[66:67]
	v_add_f64 v[114:115], v[114:115], v[176:177]
	v_fma_f64 v[156:157], v[172:173], s[10:11], v[156:157]
	v_add_f64 v[170:171], v[180:181], -v[174:175]
	v_add_f64 v[176:177], v[182:183], -v[186:187]
	v_fma_f64 v[66:67], v[166:167], s[4:5], v[66:67]
	v_add_f64 v[178:179], v[60:61], v[110:111]
	v_fma_f64 v[162:163], v[162:163], -0.5, v[60:61]
	v_add_f64 v[174:175], v[174:175], -v[186:187]
	v_add_f64 v[160:161], v[160:161], v[164:165]
	v_fma_f64 v[164:165], v[172:173], s[6:7], v[168:169]
	v_add_f64 v[168:169], v[110:111], v[108:109]
	v_fma_f64 v[156:157], v[166:167], s[14:15], v[156:157]
	;; [unrolled: 2-line block ×4, first 2 shown]
	v_add_f64 v[176:177], v[180:181], -v[182:183]
	v_fma_f64 v[158:159], v[160:161], s[16:17], v[158:159]
	v_fma_f64 v[60:61], v[168:169], -0.5, v[60:61]
	v_fma_f64 v[156:157], v[160:161], s[16:17], v[156:157]
	v_fma_f64 v[160:161], v[166:167], s[16:17], v[164:165]
	;; [unrolled: 1-line block ×3, first 2 shown]
	v_add_f64 v[164:165], v[170:171], v[184:185]
	v_add_f64 v[168:169], v[110:111], -v[112:113]
	v_fma_f64 v[166:167], v[176:177], s[14:15], v[172:173]
	v_add_f64 v[170:171], v[86:87], v[88:89]
	v_add_f64 v[172:173], v[108:109], -v[184:185]
	v_fma_f64 v[178:179], v[176:177], s[4:5], v[60:61]
	v_add_f64 v[110:111], v[112:113], -v[110:111]
	v_add_f64 v[112:113], v[184:185], -v[108:109]
	v_fma_f64 v[60:61], v[176:177], s[10:11], v[60:61]
	v_fma_f64 v[162:163], v[174:175], s[4:5], v[162:163]
	v_add_f64 v[180:181], v[64:65], v[92:93]
	v_fma_f64 v[170:171], v[170:171], -0.5, v[64:65]
	v_add_f64 v[182:183], v[56:57], -v[78:79]
	v_add_f64 v[168:169], v[168:169], v[172:173]
	v_fma_f64 v[172:173], v[174:175], s[14:15], v[178:179]
	v_add_f64 v[110:111], v[110:111], v[112:113]
	v_fma_f64 v[60:61], v[174:175], s[6:7], v[60:61]
	;; [unrolled: 2-line block ×4, first 2 shown]
	v_add_f64 v[178:179], v[58:59], -v[76:77]
	v_add_f64 v[108:109], v[164:165], v[108:109]
	v_fma_f64 v[164:165], v[168:169], s[16:17], v[166:167]
	v_fma_f64 v[166:167], v[110:111], s[16:17], v[172:173]
	;; [unrolled: 1-line block ×3, first 2 shown]
	v_fma_f64 v[60:61], v[174:175], -0.5, v[64:65]
	v_add_f64 v[62:63], v[62:63], v[186:187]
	v_fma_f64 v[162:163], v[168:169], s[16:17], v[162:163]
	v_add_f64 v[64:65], v[112:113], v[88:89]
	v_fma_f64 v[112:113], v[178:179], s[6:7], v[176:177]
	v_add_f64 v[168:169], v[92:93], -v[86:87]
	s_waitcnt lgkmcnt(0)
	v_add_f64 v[172:173], v[54:55], v[56:57]
	v_add_f64 v[174:175], v[58:59], v[76:77]
	v_add_f64 v[176:177], v[90:91], -v[88:89]
	v_fma_f64 v[170:171], v[182:183], s[10:11], v[170:171]
	v_fma_f64 v[180:181], v[178:179], s[10:11], v[60:61]
	v_add_f64 v[184:185], v[86:87], -v[92:93]
	v_add_f64 v[186:187], v[88:89], -v[90:91]
	v_fma_f64 v[60:61], v[178:179], s[4:5], v[60:61]
	v_add_f64 v[172:173], v[172:173], v[58:59]
	v_fma_f64 v[174:175], v[174:175], -0.5, v[54:55]
	v_add_f64 v[92:93], v[92:93], -v[90:91]
	v_add_f64 v[168:169], v[168:169], v[176:177]
	v_fma_f64 v[170:171], v[178:179], s[14:15], v[170:171]
	v_fma_f64 v[176:177], v[182:183], s[6:7], v[180:181]
	v_add_f64 v[178:179], v[184:185], v[186:187]
	v_fma_f64 v[60:61], v[182:183], s[14:15], v[60:61]
	v_add_f64 v[180:181], v[56:57], v[78:79]
	v_add_f64 v[172:173], v[172:173], v[76:77]
	v_fma_f64 v[182:183], v[92:93], s[10:11], v[174:175]
	v_add_f64 v[86:87], v[86:87], -v[88:89]
	v_fma_f64 v[88:89], v[168:169], s[16:17], v[112:113]
	v_add_f64 v[64:65], v[64:65], v[90:91]
	v_fma_f64 v[112:113], v[178:179], s[16:17], v[176:177]
	v_fma_f64 v[60:61], v[178:179], s[16:17], v[60:61]
	v_fma_f64 v[54:55], v[180:181], -0.5, v[54:55]
	v_add_f64 v[178:179], v[0:1], v[34:35]
	v_fma_f64 v[90:91], v[168:169], s[16:17], v[170:171]
	v_add_f64 v[168:169], v[172:173], v[78:79]
	v_fma_f64 v[170:171], v[86:87], s[14:15], v[182:183]
	v_add_f64 v[172:173], v[56:57], -v[58:59]
	v_add_f64 v[176:177], v[78:79], -v[76:77]
	v_fma_f64 v[174:175], v[92:93], s[4:5], v[174:175]
	v_add_f64 v[180:181], v[28:29], v[30:31]
	v_fma_f64 v[182:183], v[86:87], s[4:5], v[54:55]
	v_add_f64 v[56:57], v[58:59], -v[56:57]
	v_add_f64 v[58:59], v[76:77], -v[78:79]
	v_fma_f64 v[54:55], v[86:87], s[10:11], v[54:55]
	v_add_f64 v[78:79], v[178:179], v[28:29]
	v_add_f64 v[76:77], v[172:173], v[176:177]
	v_fma_f64 v[86:87], v[86:87], s[6:7], v[174:175]
	v_fma_f64 v[172:173], v[180:181], -0.5, v[0:1]
	v_add_f64 v[174:175], v[20:21], -v[26:27]
	v_fma_f64 v[176:177], v[92:93], s[14:15], v[182:183]
	v_add_f64 v[56:57], v[56:57], v[58:59]
	v_fma_f64 v[54:55], v[92:93], s[6:7], v[54:55]
	v_add_f64 v[58:59], v[34:35], v[52:53]
	v_add_f64 v[78:79], v[78:79], v[30:31]
	ds_read2_b64 v[40:43], v140 offset0:19 offset1:74
	v_fma_f64 v[92:93], v[76:77], s[16:17], v[170:171]
	v_fma_f64 v[86:87], v[76:77], s[16:17], v[86:87]
	;; [unrolled: 1-line block ×3, first 2 shown]
	v_add_f64 v[170:171], v[24:25], -v[22:23]
	v_fma_f64 v[176:177], v[56:57], s[16:17], v[176:177]
	v_fma_f64 v[178:179], v[56:57], s[16:17], v[54:55]
	v_fma_f64 v[0:1], v[58:59], -0.5, v[0:1]
	v_add_f64 v[54:55], v[78:79], v[52:53]
	v_add_f64 v[56:57], v[34:35], -v[28:29]
	v_add_f64 v[58:59], v[52:53], -v[30:31]
	v_fma_f64 v[78:79], v[174:175], s[10:11], v[172:173]
	s_waitcnt lgkmcnt(0)
	v_add_f64 v[172:173], v[40:41], v[20:21]
	v_fma_f64 v[76:77], v[170:171], s[6:7], v[76:77]
	v_add_f64 v[180:181], v[24:25], v[22:23]
	v_fma_f64 v[182:183], v[170:171], s[10:11], v[0:1]
	v_add_f64 v[184:185], v[28:29], -v[34:35]
	v_add_f64 v[186:187], v[30:31], -v[52:53]
	v_add_f64 v[56:57], v[56:57], v[58:59]
	v_fma_f64 v[58:59], v[170:171], s[14:15], v[78:79]
	v_add_f64 v[78:79], v[172:173], v[24:25]
	v_fma_f64 v[0:1], v[170:171], s[4:5], v[0:1]
	v_fma_f64 v[170:171], v[180:181], -0.5, v[40:41]
	v_add_f64 v[34:35], v[34:35], -v[52:53]
	v_fma_f64 v[52:53], v[174:175], s[6:7], v[182:183]
	v_add_f64 v[172:173], v[184:185], v[186:187]
	v_fma_f64 v[76:77], v[56:57], s[16:17], v[76:77]
	v_fma_f64 v[56:57], v[56:57], s[16:17], v[58:59]
	v_add_f64 v[58:59], v[78:79], v[22:23]
	v_add_f64 v[78:79], v[20:21], v[26:27]
	v_fma_f64 v[0:1], v[174:175], s[14:15], v[0:1]
	v_add_f64 v[28:29], v[28:29], -v[30:31]
	v_add_f64 v[180:181], v[20:21], -v[24:25]
	;; [unrolled: 1-line block ×3, first 2 shown]
	v_fma_f64 v[174:175], v[34:35], s[10:11], v[170:171]
	v_fma_f64 v[30:31], v[172:173], s[16:17], v[52:53]
	v_add_f64 v[52:53], v[14:15], v[16:17]
	v_fma_f64 v[40:41], v[78:79], -0.5, v[40:41]
	v_add_f64 v[78:79], v[2:3], v[12:13]
	v_fma_f64 v[0:1], v[172:173], s[16:17], v[0:1]
	v_add_f64 v[172:173], v[58:59], v[26:27]
	v_add_f64 v[180:181], v[180:181], v[182:183]
	v_fma_f64 v[170:171], v[34:35], s[4:5], v[170:171]
	v_add_f64 v[20:21], v[24:25], -v[20:21]
	v_add_f64 v[22:23], v[22:23], -v[26:27]
	v_fma_f64 v[182:183], v[28:29], s[4:5], v[40:41]
	v_fma_f64 v[24:25], v[28:29], s[10:11], v[40:41]
	v_add_f64 v[26:27], v[78:79], v[14:15]
	v_fma_f64 v[58:59], v[28:29], s[14:15], v[174:175]
	v_fma_f64 v[52:53], v[52:53], -0.5, v[2:3]
	v_add_f64 v[174:175], v[4:5], -v[18:19]
	v_add_f64 v[184:185], v[12:13], -v[14:15]
	;; [unrolled: 1-line block ×3, first 2 shown]
	v_fma_f64 v[28:29], v[28:29], s[6:7], v[170:171]
	v_add_f64 v[170:171], v[12:13], v[32:33]
	v_fma_f64 v[182:183], v[34:35], s[14:15], v[182:183]
	v_add_f64 v[20:21], v[20:21], v[22:23]
	;; [unrolled: 2-line block ×3, first 2 shown]
	v_fma_f64 v[40:41], v[174:175], s[4:5], v[52:53]
	v_add_f64 v[78:79], v[10:11], -v[8:9]
	v_add_f64 v[34:35], v[184:185], v[186:187]
	v_fma_f64 v[184:185], v[180:181], s[16:17], v[58:59]
	v_fma_f64 v[2:3], v[170:171], -0.5, v[2:3]
	v_fma_f64 v[170:171], v[180:181], s[16:17], v[28:29]
	v_fma_f64 v[180:181], v[20:21], s[16:17], v[182:183]
	v_fma_f64 v[20:21], v[20:21], s[16:17], v[22:23]
	v_add_f64 v[22:23], v[24:25], v[32:33]
	v_add_f64 v[24:25], v[10:11], v[8:9]
	;; [unrolled: 1-line block ×3, first 2 shown]
	v_fma_f64 v[26:27], v[78:79], s[6:7], v[40:41]
	v_fma_f64 v[28:29], v[174:175], s[10:11], v[52:53]
	;; [unrolled: 1-line block ×3, first 2 shown]
	v_add_f64 v[52:53], v[14:15], -v[12:13]
	v_add_f64 v[182:183], v[16:17], -v[32:33]
	v_add_f64 v[186:187], v[42:43], v[4:5]
	v_fma_f64 v[24:25], v[24:25], -0.5, v[42:43]
	v_add_f64 v[12:13], v[12:13], -v[32:33]
	v_add_f64 v[14:15], v[14:15], -v[16:17]
	v_fma_f64 v[16:17], v[58:59], -0.5, v[42:43]
	v_fma_f64 v[32:33], v[174:175], s[6:7], v[40:41]
	v_add_f64 v[58:59], v[4:5], -v[10:11]
	v_add_f64 v[40:41], v[52:53], v[182:183]
	v_add_f64 v[42:43], v[186:187], v[10:11]
	v_add_f64 v[4:5], v[10:11], -v[4:5]
	v_fma_f64 v[52:53], v[12:13], s[10:11], v[24:25]
	v_fma_f64 v[24:25], v[12:13], s[4:5], v[24:25]
	;; [unrolled: 1-line block ×3, first 2 shown]
	v_add_f64 v[10:11], v[8:9], -v[18:19]
	v_fma_f64 v[16:17], v[14:15], s[10:11], v[16:17]
	v_fma_f64 v[2:3], v[78:79], s[4:5], v[2:3]
	;; [unrolled: 1-line block ×3, first 2 shown]
	v_add_f64 v[78:79], v[18:19], -v[8:9]
	v_add_f64 v[8:9], v[42:43], v[8:9]
	v_fma_f64 v[42:43], v[14:15], s[14:15], v[52:53]
	v_fma_f64 v[14:15], v[14:15], s[6:7], v[24:25]
	;; [unrolled: 1-line block ×3, first 2 shown]
	v_add_f64 v[4:5], v[4:5], v[10:11]
	v_fma_f64 v[10:11], v[12:13], s[6:7], v[16:17]
	v_fma_f64 v[2:3], v[174:175], s[14:15], v[2:3]
	;; [unrolled: 1-line block ×3, first 2 shown]
	v_add_f64 v[52:53], v[58:59], v[78:79]
	v_cmp_lt_u32_e64 s[0:1], 21, v224
	v_fma_f64 v[16:17], v[40:41], s[16:17], v[32:33]
	v_fma_f64 v[12:13], v[34:35], s[16:17], v[28:29]
	;; [unrolled: 1-line block ×4, first 2 shown]
	v_mov_b32_e32 v4, 0xc08
	v_fma_f64 v[2:3], v[40:41], s[16:17], v[2:3]
	v_cndmask_b32_e64 v4, 0, v4, s[0:1]
	v_lshlrev_b32_e32 v5, 3, v120
	v_add3_u32 v182, 0, v4, v5
	v_mov_b32_e32 v5, 3
	v_mul_u32_u24_e32 v4, 0xc08, v118
	v_lshlrev_b32_sdwa v5, v5, v121 dst_sel:DWORD dst_unused:UNUSED_PAD src0_sel:DWORD src1_sel:BYTE_0
	s_waitcnt lgkmcnt(0)
	; wave barrier
	ds_write2_b64 v230, v[6:7], v[46:47] offset1:77
	ds_write2_b64 v230, v[48:49], v[50:51] offset0:154 offset1:231
	ds_write_b64 v230, v[44:45] offset:2464
	ds_write2_b64 v182, v[70:71], v[104:105] offset1:77
	ds_write2_b64 v182, v[106:107], v[74:75] offset0:154 offset1:231
	ds_write_b64 v182, v[72:73] offset:2464
	v_add3_u32 v104, 0, v4, v5
	v_lshl_add_u32 v105, v122, 3, 0
	v_mul_u32_u24_e32 v4, 0xc08, v126
	v_lshlrev_b32_e32 v5, 3, v127
	v_add_u32_e32 v106, 0x1800, v105
	v_add3_u32 v107, 0, v4, v5
	v_mul_u32_u24_e32 v4, 0xc08, v123
	v_lshlrev_b32_e32 v5, 3, v128
	ds_write2_b64 v104, v[114:115], v[142:143] offset1:77
	ds_write2_b64 v104, v[144:145], v[68:69] offset0:154 offset1:231
	ds_write_b64 v104, v[134:135] offset:2464
	ds_write2_b64 v106, v[62:63], v[158:159] offset0:2 offset1:79
	ds_write2_b64 v106, v[160:161], v[66:67] offset0:156 offset1:233
	ds_write_b64 v105, v[156:157] offset:8624
	ds_write2_b64 v107, v[64:65], v[88:89] offset1:77
	ds_write2_b64 v107, v[112:113], v[60:61] offset0:154 offset1:231
	ds_write_b64 v107, v[90:91] offset:2464
	v_add3_u32 v88, 0, v4, v5
	v_lshl_add_u32 v89, v129, 3, 0
	ds_write2_b64 v88, v[54:55], v[76:77] offset1:77
	ds_write2_b64 v88, v[30:31], v[0:1] offset0:154 offset1:231
	ds_write_b64 v88, v[56:57] offset:2464
	v_add_u32_e32 v90, 0x3000, v89
	v_add_u32_e32 v0, 0x800, v230
	v_add_f64 v[8:9], v[8:9], v[18:19]
	v_fma_f64 v[18:19], v[52:53], s[16:17], v[42:43]
	ds_write2_b64 v90, v[22:23], v[26:27] offset0:4 offset1:81
	ds_write2_b64 v90, v[16:17], v[2:3] offset0:158 offset1:235
	ds_write_b64 v89, v[12:13] offset:14784
	s_waitcnt lgkmcnt(0)
	; wave barrier
	s_waitcnt lgkmcnt(0)
	ds_read2_b64 v[40:43], v0 offset0:129 offset1:184
	v_add_u32_e32 v0, 0x1400, v230
	v_fma_f64 v[14:15], v[52:53], s[16:17], v[14:15]
	ds_read_b64 v[120:121], v230
	ds_read2_b64 v[48:51], v0 offset0:75 offset1:130
	ds_read2_b64 v[52:55], v130 offset0:131 offset1:186
	v_add_u32_e32 v0, 0x2c00, v230
	ds_read2_b64 v[44:47], v0 offset0:77 offset1:132
	ds_read2_b64 v[60:63], v124 offset0:57 offset1:112
	;; [unrolled: 1-line block ×5, first 2 shown]
	ds_read_b64 v[126:127], v229
	ds_read2_b64 v[76:79], v124 offset0:167 offset1:222
	ds_read2_b64 v[72:75], v125 offset0:169 offset1:224
	ds_read_b64 v[124:125], v132
	ds_read_b64 v[122:123], v131
	;; [unrolled: 1-line block ×3, first 2 shown]
	ds_read2_b64 v[28:31], v138 offset0:93 offset1:148
	ds_read2_b64 v[24:27], v139 offset0:95 offset1:150
	;; [unrolled: 1-line block ×5, first 2 shown]
	v_mov_b32_e32 v196, v133
	v_mov_b32_e32 v190, v132
	;; [unrolled: 1-line block ×3, first 2 shown]
	s_waitcnt lgkmcnt(0)
	; wave barrier
	s_waitcnt lgkmcnt(0)
	ds_write2_b64 v230, v[36:37], v[80:81] offset1:77
	ds_write2_b64 v230, v[82:83], v[84:85] offset0:154 offset1:231
	ds_write_b64 v230, v[38:39] offset:2464
	ds_write2_b64 v182, v[94:95], v[98:99] offset1:77
	ds_write2_b64 v182, v[100:101], v[102:103] offset0:154 offset1:231
	ds_write_b64 v182, v[96:97] offset:2464
	;; [unrolled: 3-line block ×3, first 2 shown]
	ds_write2_b64 v106, v[108:109], v[164:165] offset0:2 offset1:79
	ds_write2_b64 v106, v[166:167], v[110:111] offset0:156 offset1:233
	ds_write_b64 v105, v[162:163] offset:8624
	ds_write2_b64 v107, v[168:169], v[92:93] offset1:77
	ds_write2_b64 v107, v[176:177], v[178:179] offset0:154 offset1:231
	ds_write_b64 v107, v[86:87] offset:2464
	ds_write2_b64 v88, v[172:173], v[184:185] offset1:77
	ds_write2_b64 v88, v[180:181], v[20:21] offset0:154 offset1:231
	ds_write_b64 v88, v[170:171] offset:2464
	ds_write2_b64 v90, v[8:9], v[18:19] offset0:4 offset1:81
	ds_write2_b64 v90, v[174:175], v[10:11] offset0:158 offset1:235
	ds_write_b64 v89, v[14:15] offset:14784
	s_waitcnt lgkmcnt(0)
	; wave barrier
	s_waitcnt lgkmcnt(0)
	s_and_saveexec_b64 s[0:1], vcc
	s_cbranch_execz .LBB0_23
; %bb.22:
	v_add_u32_e32 v192, 0x14a, v224
	v_lshlrev_b32_e32 v118, 2, v192
	v_add_u32_e32 v193, 0x113, v224
	v_lshlrev_b64 v[8:9], 4, v[118:119]
	v_lshlrev_b32_e32 v118, 2, v193
	v_lshlrev_b64 v[16:17], 4, v[118:119]
	v_mov_b32_e32 v146, s9
	v_add_co_u32_e32 v8, vcc, s8, v8
	v_add_co_u32_e64 v18, s[0:1], s8, v16
	v_addc_co_u32_e32 v83, vcc, v146, v9, vcc
	s_movk_i32 s9, 0x17a0
	v_addc_co_u32_e64 v19, s[0:1], v146, v17, s[0:1]
	v_add_co_u32_e32 v80, vcc, 0x17a0, v8
	v_add_co_u32_e64 v16, s[0:1], s9, v18
	v_addc_co_u32_e32 v81, vcc, 0, v83, vcc
	s_movk_i32 s18, 0x1000
	v_addc_co_u32_e64 v17, s[0:1], 0, v19, s[0:1]
	v_add_co_u32_e32 v82, vcc, 0x1000, v8
	v_add_co_u32_e64 v18, s[0:1], s18, v18
	v_addc_co_u32_e64 v19, s[0:1], 0, v19, s[0:1]
	v_addc_co_u32_e32 v83, vcc, 0, v83, vcc
	global_load_dwordx4 v[8:11], v[80:81], off offset:32
	global_load_dwordx4 v[12:15], v[80:81], off offset:16
	;; [unrolled: 1-line block ×6, first 2 shown]
	s_nop 0
	global_load_dwordx4 v[16:19], v[82:83], off offset:1952
	global_load_dwordx4 v[96:99], v[80:81], off offset:48
	v_lshl_add_u32 v82, v224, 3, 0
	v_add_u32_e32 v147, 0x2000, v230
	v_add_u32_e32 v80, 0x1400, v230
	;; [unrolled: 1-line block ×7, first 2 shown]
	v_lshlrev_b32_e32 v118, 2, v233
	ds_read2_b64 v[100:103], v147 offset0:21 offset1:76
	ds_read2_b64 v[84:87], v80 offset0:75 offset1:130
	;; [unrolled: 1-line block ×7, first 2 shown]
	v_lshlrev_b64 v[112:113], 4, v[118:119]
	v_add_co_u32_e32 v114, vcc, s8, v112
	v_addc_co_u32_e32 v115, vcc, v146, v113, vcc
	v_add_co_u32_e32 v112, vcc, s9, v114
	v_addc_co_u32_e32 v113, vcc, 0, v115, vcc
	;; [unrolled: 2-line block ×3, first 2 shown]
	global_load_dwordx4 v[150:153], v[114:115], off offset:1952
	global_load_dwordx4 v[154:157], v[112:113], off offset:48
	s_waitcnt vmcnt(7) lgkmcnt(0)
	v_mul_f64 v[144:145], v[20:21], v[140:141]
	v_mul_f64 v[134:135], v[8:9], v[80:81]
	;; [unrolled: 1-line block ×4, first 2 shown]
	s_waitcnt vmcnt(6)
	v_mul_f64 v[136:137], v[36:37], v[100:101]
	v_mul_f64 v[158:159], v[38:39], v[100:101]
	s_waitcnt vmcnt(3)
	v_mul_f64 v[100:101], v[16:17], v[84:85]
	s_waitcnt vmcnt(2)
	v_mul_f64 v[160:161], v[96:97], v[106:107]
	v_mul_f64 v[80:81], v[10:11], v[80:81]
	;; [unrolled: 1-line block ×4, first 2 shown]
	v_fma_f64 v[14:15], v[6:7], v[14:15], v[114:115]
	v_fma_f64 v[12:13], v[6:7], v[12:13], -v[102:103]
	v_fma_f64 v[6:7], v[44:45], v[10:11], v[134:135]
	v_fma_f64 v[10:11], v[48:49], v[18:19], v[100:101]
	;; [unrolled: 1-line block ×3, first 2 shown]
	v_mul_f64 v[148:149], v[92:93], v[104:105]
	v_fma_f64 v[8:9], v[44:45], v[8:9], -v[80:81]
	v_fma_f64 v[16:17], v[48:49], v[16:17], -v[84:85]
	;; [unrolled: 1-line block ×3, first 2 shown]
	v_mul_f64 v[142:143], v[88:89], v[132:133]
	v_add_f64 v[44:45], v[14:15], v[6:7]
	v_add_f64 v[80:81], v[14:15], -v[6:7]
	v_add_f64 v[100:101], v[10:11], v[18:19]
	v_fma_f64 v[134:135], v[0:1], v[94:95], v[148:149]
	v_add_f64 v[2:3], v[12:13], -v[8:9]
	v_add_f64 v[148:149], v[10:11], v[110:111]
	v_add_f64 v[160:161], v[16:17], v[48:49]
	v_add_f64 v[96:97], v[14:15], -v[10:11]
	v_add_f64 v[98:99], v[6:7], -v[18:19]
	;; [unrolled: 1-line block ×3, first 2 shown]
	v_fma_f64 v[100:101], v[100:101], -0.5, v[110:111]
	v_add_f64 v[106:107], v[10:11], -v[14:15]
	v_fma_f64 v[44:45], v[44:45], -0.5, v[110:111]
	v_add_f64 v[164:165], v[10:11], -v[18:19]
	v_add_f64 v[10:11], v[14:15], v[148:149]
	v_fma_f64 v[14:15], v[160:161], -0.5, v[34:35]
	v_fma_f64 v[114:115], v[30:31], v[90:91], v[142:143]
	v_add_f64 v[142:143], v[18:19], -v[6:7]
	v_fma_f64 v[160:161], v[2:3], s[10:11], v[100:101]
	v_fma_f64 v[100:101], v[2:3], s[4:5], v[100:101]
	v_add_f64 v[162:163], v[12:13], -v[16:17]
	v_add_f64 v[110:111], v[8:9], -v[48:49]
	v_fma_f64 v[148:149], v[102:103], s[4:5], v[44:45]
	v_add_f64 v[96:97], v[96:97], v[98:99]
	v_add_f64 v[6:7], v[6:7], v[10:11]
	v_fma_f64 v[10:11], v[80:81], s[4:5], v[14:15]
	v_fma_f64 v[44:45], v[102:103], s[10:11], v[44:45]
	;; [unrolled: 1-line block ×3, first 2 shown]
	v_add_f64 v[98:99], v[106:107], v[142:143]
	v_fma_f64 v[142:143], v[102:103], s[6:7], v[160:161]
	v_fma_f64 v[106:107], v[2:3], s[6:7], v[148:149]
	v_add_f64 v[148:149], v[162:163], v[110:111]
	v_mul_f64 v[140:141], v[22:23], v[140:141]
	v_fma_f64 v[162:163], v[164:165], s[14:15], v[10:11]
	v_fma_f64 v[44:45], v[2:3], s[14:15], v[44:45]
	;; [unrolled: 1-line block ×3, first 2 shown]
	global_load_dwordx4 v[100:103], v[112:113], off offset:32
	s_nop 0
	global_load_dwordx4 v[110:113], v[112:113], off offset:16
	v_add_f64 v[84:85], v[12:13], v[8:9]
	v_fma_f64 v[160:161], v[80:81], s[10:11], v[14:15]
	v_add_f64 v[18:19], v[18:19], v[6:7]
	v_fma_f64 v[6:7], v[96:97], s[16:17], v[142:143]
	v_mul_f64 v[90:91], v[90:91], v[132:133]
	v_fma_f64 v[14:15], v[98:99], s[16:17], v[44:45]
	v_mul_f64 v[94:95], v[94:95], v[104:105]
	v_add_f64 v[96:97], v[114:115], v[134:135]
	v_fma_f64 v[104:105], v[4:5], v[36:37], -v[158:159]
	v_fma_f64 v[44:45], v[26:27], v[20:21], -v[140:141]
	v_add_f64 v[166:167], v[16:17], -v[12:13]
	v_fma_f64 v[20:21], v[84:85], -0.5, v[34:35]
	v_add_f64 v[16:17], v[34:35], v[16:17]
	v_fma_f64 v[34:35], v[4:5], v[38:39], v[136:137]
	v_fma_f64 v[26:27], v[26:27], v[22:23], v[144:145]
	v_fma_f64 v[84:85], v[30:31], v[88:89], -v[90:91]
	v_fma_f64 v[36:37], v[0:1], v[92:93], -v[94:95]
	v_fma_f64 v[30:31], v[96:97], -0.5, v[108:109]
	v_add_f64 v[38:39], v[104:105], -v[44:45]
	v_add_f64 v[0:1], v[48:49], -v[8:9]
	v_fma_f64 v[4:5], v[164:165], s[10:11], v[20:21]
	v_fma_f64 v[20:21], v[164:165], s[4:5], v[20:21]
	v_add_f64 v[12:13], v[12:13], v[16:17]
	v_add_f64 v[16:17], v[34:35], -v[114:115]
	v_add_f64 v[22:23], v[26:27], -v[134:135]
	;; [unrolled: 1-line block ×3, first 2 shown]
	v_fma_f64 v[90:91], v[38:39], s[10:11], v[30:31]
	v_fma_f64 v[92:93], v[164:165], s[6:7], v[160:161]
	v_add_f64 v[94:95], v[166:167], v[0:1]
	v_fma_f64 v[20:21], v[80:81], s[6:7], v[20:21]
	v_fma_f64 v[0:1], v[80:81], s[14:15], v[4:5]
	v_add_f64 v[80:81], v[12:13], v[8:9]
	v_add_f64 v[96:97], v[16:17], v[22:23]
	;; [unrolled: 1-line block ×3, first 2 shown]
	v_fma_f64 v[90:91], v[88:89], s[6:7], v[90:91]
	v_fma_f64 v[8:9], v[148:149], s[16:17], v[92:93]
	v_add_f64 v[92:93], v[84:85], v[36:37]
	v_fma_f64 v[12:13], v[94:95], s[16:17], v[20:21]
	v_fma_f64 v[2:3], v[98:99], s[16:17], v[106:107]
	v_add_f64 v[16:17], v[80:81], v[48:49]
	v_add_f64 v[48:49], v[114:115], v[108:109]
	v_fma_f64 v[20:21], v[22:23], -0.5, v[108:109]
	v_fma_f64 v[22:23], v[96:97], s[16:17], v[90:91]
	v_add_f64 v[80:81], v[34:35], -v[26:27]
	v_fma_f64 v[90:91], v[92:93], -0.5, v[32:33]
	v_fma_f64 v[0:1], v[94:95], s[16:17], v[0:1]
	v_add_f64 v[92:93], v[114:115], -v[34:35]
	v_add_f64 v[94:95], v[134:135], -v[26:27]
	v_fma_f64 v[30:31], v[38:39], s[4:5], v[30:31]
	v_fma_f64 v[98:99], v[88:89], s[4:5], v[20:21]
	;; [unrolled: 1-line block ×3, first 2 shown]
	v_add_f64 v[34:35], v[34:35], v[48:49]
	v_add_f64 v[48:49], v[104:105], -v[84:85]
	v_add_f64 v[106:107], v[44:45], -v[36:37]
	v_fma_f64 v[108:109], v[80:81], s[4:5], v[90:91]
	v_add_f64 v[114:115], v[114:115], -v[134:135]
	v_add_f64 v[92:93], v[92:93], v[94:95]
	v_fma_f64 v[94:95], v[38:39], s[6:7], v[98:99]
	v_fma_f64 v[20:21], v[38:39], s[14:15], v[20:21]
	;; [unrolled: 1-line block ×3, first 2 shown]
	v_add_f64 v[38:39], v[26:27], v[34:35]
	v_add_f64 v[88:89], v[48:49], v[106:107]
	v_fma_f64 v[90:91], v[80:81], s[10:11], v[90:91]
	v_fma_f64 v[98:99], v[114:115], s[14:15], v[108:109]
	v_add_f64 v[106:107], v[84:85], -v[104:105]
	v_add_f64 v[108:109], v[36:37], -v[44:45]
	v_fma_f64 v[4:5], v[148:149], s[16:17], v[162:163]
	v_add_u32_e32 v149, 0x3000, v230
	v_fma_f64 v[26:27], v[92:93], s[16:17], v[94:95]
	v_fma_f64 v[34:35], v[92:93], s[16:17], v[20:21]
	ds_read2_b64 v[92:95], v149 offset0:169 offset1:224
	v_add_f64 v[48:49], v[104:105], v[44:45]
	v_add_f64 v[38:39], v[134:135], v[38:39]
	v_fma_f64 v[134:135], v[114:115], s[6:7], v[90:91]
	v_add_f64 v[90:91], v[106:107], v[108:109]
	v_add_f64 v[84:85], v[32:33], v[84:85]
	s_waitcnt vmcnt(2) lgkmcnt(0)
	v_mul_f64 v[108:109], v[154:155], v[94:95]
	v_mul_f64 v[106:107], v[150:151], v[130:131]
	v_add_u32_e32 v148, 0x1800, v230
	v_fma_f64 v[48:49], v[48:49], -0.5, v[32:33]
	v_fma_f64 v[30:31], v[96:97], s[16:17], v[30:31]
	v_fma_f64 v[20:21], v[88:89], s[16:17], v[98:99]
	ds_read2_b64 v[96:99], v148 offset0:167 offset1:222
	v_add_f64 v[142:143], v[104:105], v[84:85]
	s_waitcnt vmcnt(1)
	v_mul_f64 v[84:85], v[100:101], v[138:139]
	v_fma_f64 v[136:137], v[74:75], v[156:157], v[108:109]
	v_mul_f64 v[108:109], v[102:103], v[138:139]
	v_fma_f64 v[32:33], v[114:115], s[10:11], v[48:49]
	v_fma_f64 v[140:141], v[114:115], s[4:5], v[48:49]
	s_waitcnt vmcnt(0) lgkmcnt(0)
	v_mul_f64 v[48:49], v[110:111], v[98:99]
	v_mul_f64 v[114:115], v[156:157], v[94:95]
	v_fma_f64 v[94:95], v[28:29], v[152:153], v[106:107]
	v_mul_f64 v[106:107], v[112:113], v[98:99]
	v_fma_f64 v[98:99], v[24:25], v[102:103], v[84:85]
	v_fma_f64 v[84:85], v[24:25], v[100:101], -v[108:109]
	buffer_load_dword v24, off, s[40:43], 0 offset:24 ; 4-byte Folded Reload
	v_mul_f64 v[104:105], v[152:153], v[130:131]
	v_fma_f64 v[138:139], v[78:79], v[112:113], v[48:49]
	v_fma_f64 v[48:49], v[74:75], v[154:155], -v[114:115]
	ds_read_b64 v[74:75], v196
	v_fma_f64 v[130:131], v[78:79], v[110:111], -v[106:107]
	v_add_f64 v[44:45], v[142:143], v[44:45]
	v_add_f64 v[168:169], v[94:95], -v[136:137]
	v_fma_f64 v[132:133], v[28:29], v[150:151], -v[104:105]
	v_add_f64 v[28:29], v[94:95], v[136:137]
	v_add_f64 v[152:153], v[138:139], v[98:99]
	v_add_f64 v[166:167], v[138:139], -v[98:99]
	v_add_f64 v[150:151], v[130:131], -v[84:85]
	v_add_f64 v[36:37], v[44:45], v[36:37]
	v_add_f64 v[170:171], v[48:49], -v[84:85]
	v_add_f64 v[142:143], v[132:133], -v[48:49]
	s_waitcnt vmcnt(0)
	v_lshlrev_b32_e32 v118, 2, v24
	v_lshlrev_b64 v[24:25], 4, v[118:119]
	v_add_u32_e32 v118, 0xc00, v230
	v_add_co_u32_e32 v78, vcc, s8, v24
	v_addc_co_u32_e32 v79, vcc, v146, v25, vcc
	v_add_co_u32_e32 v24, vcc, s18, v78
	v_addc_co_u32_e32 v25, vcc, 0, v79, vcc
	global_load_dwordx4 v[100:103], v[24:25], off offset:1952
	v_add_co_u32_e32 v24, vcc, s9, v78
	v_addc_co_u32_e32 v25, vcc, 0, v79, vcc
	global_load_dwordx4 v[104:107], v[24:25], off offset:48
	global_load_dwordx4 v[108:111], v[24:25], off offset:32
	;; [unrolled: 1-line block ×3, first 2 shown]
	v_fma_f64 v[24:25], v[80:81], s[14:15], v[32:33]
	v_fma_f64 v[32:33], v[80:81], s[6:7], v[140:141]
	v_add_f64 v[80:81], v[138:139], -v[94:95]
	v_add_f64 v[140:141], v[98:99], -v[136:137]
	s_waitcnt lgkmcnt(0)
	v_fma_f64 v[78:79], v[28:29], -0.5, v[74:75]
	v_fma_f64 v[28:29], v[88:89], s[16:17], v[134:135]
	v_add_f64 v[134:135], v[94:95], -v[138:139]
	ds_read_b64 v[144:145], v190
	ds_read_b64 v[178:179], v189
	;; [unrolled: 1-line block ×3, first 2 shown]
	v_add_f64 v[88:89], v[132:133], v[48:49]
	v_fma_f64 v[24:25], v[90:91], s[16:17], v[24:25]
	v_fma_f64 v[32:33], v[90:91], s[16:17], v[32:33]
	v_add_f64 v[44:45], v[80:81], v[140:141]
	v_fma_f64 v[80:81], v[152:153], -0.5, v[74:75]
	v_add_f64 v[74:75], v[94:95], v[74:75]
	v_add_f64 v[140:141], v[136:137], -v[98:99]
	v_fma_f64 v[154:155], v[150:151], s[10:11], v[78:79]
	v_fma_f64 v[88:89], v[88:89], -0.5, v[128:129]
	v_fma_f64 v[78:79], v[150:151], s[4:5], v[78:79]
	v_fma_f64 v[152:153], v[142:143], s[4:5], v[80:81]
	v_add_f64 v[74:75], v[138:139], v[74:75]
	v_add_f64 v[94:95], v[134:135], v[140:141]
	v_fma_f64 v[90:91], v[142:143], s[6:7], v[154:155]
	v_add_f64 v[138:139], v[130:131], -v[132:133]
	v_add_f64 v[154:155], v[84:85], -v[48:49]
	v_fma_f64 v[156:157], v[166:167], s[4:5], v[88:89]
	v_fma_f64 v[88:89], v[166:167], s[10:11], v[88:89]
	;; [unrolled: 1-line block ×3, first 2 shown]
	v_add_f64 v[98:99], v[98:99], v[74:75]
	v_fma_f64 v[80:81], v[142:143], s[10:11], v[80:81]
	v_fma_f64 v[78:79], v[142:143], s[14:15], v[78:79]
	v_add_f64 v[138:139], v[138:139], v[154:155]
	v_fma_f64 v[142:143], v[168:169], s[14:15], v[156:157]
	v_fma_f64 v[88:89], v[168:169], s[6:7], v[88:89]
	;; [unrolled: 1-line block ×3, first 2 shown]
	v_add_f64 v[98:99], v[136:137], v[98:99]
	ds_read2_b64 v[134:137], v118 offset0:111 offset1:166
	buffer_load_dword v118, off, s[40:43], 0 offset:16 ; 4-byte Folded Reload
	v_fma_f64 v[140:141], v[150:151], s[14:15], v[80:81]
	v_add_f64 v[150:151], v[130:131], v[84:85]
	v_fma_f64 v[80:81], v[44:45], s[16:17], v[90:91]
	v_fma_f64 v[90:91], v[44:45], s[16:17], v[78:79]
	;; [unrolled: 1-line block ×4, first 2 shown]
	v_add_f64 v[44:45], v[132:133], -v[130:131]
	v_fma_f64 v[94:95], v[94:95], s[16:17], v[140:141]
	v_fma_f64 v[142:143], v[150:151], -0.5, v[128:129]
	v_add_f64 v[128:129], v[128:129], v[132:133]
	v_add_f64 v[44:45], v[44:45], v[170:171]
	v_fma_f64 v[172:173], v[168:169], s[10:11], v[142:143]
	v_fma_f64 v[142:143], v[168:169], s[4:5], v[142:143]
	v_add_f64 v[128:129], v[130:131], v[128:129]
	v_fma_f64 v[170:171], v[166:167], s[14:15], v[172:173]
	v_add_f64 v[84:85], v[128:129], v[84:85]
	s_waitcnt vmcnt(4) lgkmcnt(0)
	v_mul_f64 v[174:175], v[100:101], v[136:137]
	s_waitcnt vmcnt(3)
	v_mul_f64 v[176:177], v[104:105], v[92:93]
	v_mul_f64 v[92:93], v[106:107], v[92:93]
	s_waitcnt vmcnt(1)
	v_mul_f64 v[132:133], v[112:113], v[96:97]
	v_mul_f64 v[96:97], v[114:115], v[96:97]
	v_fma_f64 v[168:169], v[66:67], v[102:103], v[174:175]
	v_mul_f64 v[102:103], v[102:103], v[136:137]
	v_fma_f64 v[174:175], v[72:73], v[106:107], v[176:177]
	v_fma_f64 v[136:137], v[72:73], v[104:105], -v[92:93]
	v_fma_f64 v[114:115], v[76:77], v[114:115], v[132:133]
	v_fma_f64 v[76:77], v[76:77], v[112:113], -v[96:97]
	v_fma_f64 v[72:73], v[44:45], s[16:17], v[170:171]
	v_add_f64 v[96:97], v[84:85], v[48:49]
	v_fma_f64 v[132:133], v[66:67], v[100:101], -v[102:103]
	v_add_f64 v[106:107], v[168:169], v[174:175]
	v_add_f64 v[182:183], v[168:169], -v[174:175]
	v_add_f64 v[104:105], v[114:115], -v[168:169]
	s_waitcnt vmcnt(0)
	v_lshlrev_b32_e32 v118, 2, v118
	v_lshlrev_b64 v[138:139], 4, v[118:119]
	v_add_co_u32_e32 v118, vcc, s8, v138
	v_addc_co_u32_e32 v150, vcc, v146, v139, vcc
	v_add_co_u32_e32 v138, vcc, s18, v118
	v_addc_co_u32_e32 v139, vcc, 0, v150, vcc
	global_load_dwordx4 v[138:141], v[138:139], off offset:1952
	v_add_co_u32_e32 v158, vcc, s9, v118
	v_addc_co_u32_e32 v159, vcc, 0, v150, vcc
	global_load_dwordx4 v[150:153], v[158:159], off offset:48
	v_add_u32_e32 v118, 0x2400, v230
	global_load_dwordx4 v[154:157], v[158:159], off offset:32
	s_nop 0
	global_load_dwordx4 v[158:161], v[158:159], off offset:16
	ds_read2_b64 v[162:165], v118 offset0:113 offset1:168
	buffer_load_dword v118, off, s[40:43], 0 offset:8 ; 4-byte Folded Reload
	ds_read_b64 v[112:113], v229
	s_waitcnt lgkmcnt(1)
	v_mul_f64 v[172:173], v[108:109], v[164:165]
	v_mul_f64 v[164:165], v[110:111], v[164:165]
	s_waitcnt lgkmcnt(0)
	v_fma_f64 v[100:101], v[106:107], -0.5, v[112:113]
	v_fma_f64 v[110:111], v[70:71], v[110:111], v[172:173]
	v_fma_f64 v[108:109], v[70:71], v[108:109], -v[164:165]
	v_fma_f64 v[70:71], v[166:167], s[6:7], v[142:143]
	ds_read2_b64 v[164:167], v148 offset0:57 offset1:112
	v_add_f64 v[66:67], v[114:115], v[110:111]
	v_add_f64 v[102:103], v[76:77], -v[108:109]
	v_add_f64 v[106:107], v[110:111], -v[174:175]
	v_fma_f64 v[92:93], v[44:45], s[16:17], v[70:71]
	v_add_f64 v[44:45], v[132:133], -v[136:137]
	v_add_f64 v[70:71], v[132:133], v[136:137]
	v_add_f64 v[176:177], v[114:115], -v[110:111]
	v_add_f64 v[142:143], v[136:137], -v[108:109]
	v_fma_f64 v[66:67], v[66:67], -0.5, v[112:113]
	v_fma_f64 v[48:49], v[102:103], s[10:11], v[100:101]
	v_add_f64 v[84:85], v[104:105], v[106:107]
	v_fma_f64 v[100:101], v[102:103], s[4:5], v[100:101]
	v_add_f64 v[104:105], v[168:169], -v[114:115]
	v_add_f64 v[106:107], v[174:175], -v[110:111]
	v_add_f64 v[112:113], v[168:169], v[112:113]
	v_fma_f64 v[130:131], v[70:71], -0.5, v[126:127]
	v_fma_f64 v[128:129], v[44:45], s[4:5], v[66:67]
	v_fma_f64 v[48:49], v[44:45], s[6:7], v[48:49]
	;; [unrolled: 1-line block ×4, first 2 shown]
	v_add_f64 v[100:101], v[104:105], v[106:107]
	v_add_f64 v[104:105], v[114:115], v[112:113]
	v_add_f64 v[106:107], v[76:77], -v[132:133]
	v_fma_f64 v[66:67], v[102:103], s[6:7], v[128:129]
	v_add_f64 v[112:113], v[108:109], -v[136:137]
	v_fma_f64 v[114:115], v[176:177], s[4:5], v[130:131]
	v_fma_f64 v[70:71], v[84:85], s[16:17], v[70:71]
	;; [unrolled: 1-line block ×4, first 2 shown]
	v_add_f64 v[84:85], v[110:111], v[104:105]
	v_add_f64 v[48:49], v[76:77], v[108:109]
	v_fma_f64 v[66:67], v[100:101], s[16:17], v[66:67]
	v_add_f64 v[104:105], v[106:107], v[112:113]
	v_fma_f64 v[112:113], v[182:183], s[14:15], v[114:115]
	v_add_f64 v[114:115], v[132:133], -v[76:77]
	v_fma_f64 v[106:107], v[100:101], s[16:17], v[44:45]
	v_fma_f64 v[44:45], v[176:177], s[10:11], v[130:131]
	v_add_f64 v[110:111], v[174:175], v[84:85]
	v_fma_f64 v[48:49], v[48:49], -0.5, v[126:127]
	v_add_f64 v[126:127], v[126:127], v[132:133]
	ds_read2_b64 v[128:131], v149 offset0:59 offset1:114
	v_fma_f64 v[100:101], v[104:105], s[16:17], v[112:113]
	v_add_f64 v[114:115], v[114:115], v[142:143]
	v_fma_f64 v[44:45], v[182:183], s[6:7], v[44:45]
	v_fma_f64 v[148:149], v[182:183], s[10:11], v[48:49]
	v_add_f64 v[76:77], v[76:77], v[126:127]
	v_fma_f64 v[48:49], v[182:183], s[4:5], v[48:49]
	s_waitcnt vmcnt(4)
	v_mul_f64 v[84:85], v[138:139], v[134:135]
	v_mul_f64 v[186:187], v[140:141], v[134:135]
	s_waitcnt vmcnt(3) lgkmcnt(0)
	v_mul_f64 v[112:113], v[150:151], v[130:131]
	s_waitcnt vmcnt(2)
	v_mul_f64 v[184:185], v[154:155], v[162:163]
	s_waitcnt vmcnt(1)
	v_mul_f64 v[174:175], v[158:159], v[166:167]
	v_fma_f64 v[84:85], v[64:65], v[140:141], v[84:85]
	s_waitcnt vmcnt(0)
	v_lshlrev_b32_e32 v118, 2, v118
	v_lshlrev_b64 v[118:119], 4, v[118:119]
	v_mul_f64 v[188:189], v[160:161], v[166:167]
	v_add_co_u32_e32 v140, vcc, s8, v118
	v_addc_co_u32_e32 v141, vcc, v146, v119, vcc
	v_add_co_u32_e32 v118, vcc, s18, v140
	v_addc_co_u32_e32 v119, vcc, 0, v141, vcc
	global_load_dwordx4 v[132:135], v[118:119], off offset:1952
	v_add_co_u32_e32 v118, vcc, s9, v140
	v_addc_co_u32_e32 v119, vcc, 0, v141, vcc
	global_load_dwordx4 v[140:143], v[118:119], off offset:48
	global_load_dwordx4 v[166:169], v[118:119], off offset:32
	;; [unrolled: 1-line block ×3, first 2 shown]
	v_fma_f64 v[112:113], v[58:59], v[152:153], v[112:113]
	v_mul_f64 v[130:131], v[152:153], v[130:131]
	v_fma_f64 v[188:189], v[62:63], v[158:159], -v[188:189]
	v_fma_f64 v[62:63], v[62:63], v[160:161], v[174:175]
	v_fma_f64 v[118:119], v[68:69], v[156:157], v[184:185]
	v_mul_f64 v[162:163], v[156:157], v[162:163]
	v_fma_f64 v[126:127], v[64:65], v[138:139], -v[186:187]
	v_add_f64 v[76:77], v[76:77], v[108:109]
	v_add_f64 v[152:153], v[84:85], v[112:113]
	v_fma_f64 v[130:131], v[58:59], v[150:151], -v[130:131]
	v_fma_f64 v[64:65], v[176:177], s[14:15], v[148:149]
	v_fma_f64 v[48:49], v[176:177], s[6:7], v[48:49]
	v_add_f64 v[150:151], v[62:63], v[118:119]
	v_fma_f64 v[190:191], v[68:69], v[154:155], -v[162:163]
	v_add_f64 v[148:149], v[62:63], -v[84:85]
	v_fma_f64 v[68:69], v[104:105], s[16:17], v[44:45]
	v_fma_f64 v[58:59], v[152:153], -0.5, v[144:145]
	v_add_f64 v[152:153], v[118:119], -v[112:113]
	v_add_f64 v[154:155], v[126:127], -v[130:131]
	v_add_f64 v[108:109], v[76:77], v[136:137]
	v_fma_f64 v[44:45], v[150:151], -0.5, v[144:145]
	v_add_f64 v[136:137], v[126:127], v[130:131]
	v_add_f64 v[138:139], v[188:189], -v[190:191]
	v_add_f64 v[76:77], v[84:85], v[144:145]
	v_fma_f64 v[104:105], v[114:115], s[16:17], v[48:49]
	v_add_f64 v[48:49], v[148:149], v[152:153]
	v_add_f64 v[144:145], v[84:85], -v[62:63]
	v_add_f64 v[148:149], v[112:113], -v[118:119]
	v_fma_f64 v[150:151], v[154:155], s[4:5], v[44:45]
	v_fma_f64 v[136:137], v[136:137], -0.5, v[124:125]
	v_add_f64 v[182:183], v[62:63], -v[118:119]
	v_fma_f64 v[156:157], v[138:139], s[10:11], v[58:59]
	v_fma_f64 v[58:59], v[138:139], s[4:5], v[58:59]
	;; [unrolled: 1-line block ×3, first 2 shown]
	v_add_f64 v[76:77], v[62:63], v[76:77]
	v_add_f64 v[62:63], v[144:145], v[148:149]
	v_fma_f64 v[144:145], v[138:139], s[6:7], v[150:151]
	v_add_f64 v[84:85], v[84:85], -v[112:113]
	v_fma_f64 v[152:153], v[182:183], s[4:5], v[136:137]
	v_fma_f64 v[136:137], v[182:183], s[10:11], v[136:137]
	;; [unrolled: 1-line block ×4, first 2 shown]
	v_add_f64 v[76:77], v[118:119], v[76:77]
	v_add_f64 v[148:149], v[188:189], -v[126:127]
	v_add_f64 v[150:151], v[190:191], -v[130:131]
	v_fma_f64 v[44:45], v[62:63], s[16:17], v[144:145]
	v_add_u32_e32 v146, 0x800, v230
	v_fma_f64 v[144:145], v[84:85], s[6:7], v[136:137]
	v_add_co_u32_e32 v136, vcc, s18, v116
	v_addc_co_u32_e32 v137, vcc, 0, v117, vcc
	v_add_co_u32_e32 v116, vcc, s9, v116
	v_addc_co_u32_e32 v117, vcc, 0, v117, vcc
	v_fma_f64 v[64:65], v[114:115], s[16:17], v[64:65]
	v_fma_f64 v[114:115], v[154:155], s[6:7], v[156:157]
	;; [unrolled: 1-line block ×4, first 2 shown]
	v_add_f64 v[62:63], v[112:113], v[76:77]
	v_add_f64 v[76:77], v[148:149], v[150:151]
	v_fma_f64 v[112:113], v[84:85], s[14:15], v[152:153]
	global_load_dwordx4 v[136:139], v[136:137], off offset:1952
	ds_read2_b64 v[152:155], v146 offset0:129 offset1:184
	global_load_dwordx4 v[148:151], v[116:117], off offset:48
	global_load_dwordx4 v[156:159], v[116:117], off offset:32
	;; [unrolled: 1-line block ×3, first 2 shown]
	v_fma_f64 v[114:115], v[48:49], s[16:17], v[114:115]
	v_add_f64 v[48:49], v[188:189], v[190:191]
	v_add_f64 v[174:175], v[126:127], -v[188:189]
	v_add_f64 v[176:177], v[130:131], -v[190:191]
	v_fma_f64 v[112:113], v[76:77], s[16:17], v[112:113]
	v_fma_f64 v[116:117], v[76:77], s[16:17], v[144:145]
	s_waitcnt vmcnt(7) lgkmcnt(0)
	v_mul_f64 v[76:77], v[132:133], v[154:155]
	v_fma_f64 v[48:49], v[48:49], -0.5, v[124:125]
	v_add_f64 v[124:125], v[124:125], v[126:127]
	s_waitcnt vmcnt(6)
	v_mul_f64 v[184:185], v[140:141], v[128:129]
	v_add_f64 v[144:145], v[174:175], v[176:177]
	ds_read2_b64 v[174:177], v147 offset0:131 offset1:186
	s_waitcnt vmcnt(4)
	v_mul_f64 v[126:127], v[170:171], v[164:165]
	v_fma_f64 v[76:77], v[42:43], v[134:135], v[76:77]
	v_mul_f64 v[164:165], v[172:173], v[164:165]
	v_fma_f64 v[186:187], v[84:85], s[10:11], v[48:49]
	v_fma_f64 v[48:49], v[84:85], s[4:5], v[48:49]
	s_waitcnt lgkmcnt(0)
	v_mul_f64 v[84:85], v[166:167], v[176:177]
	v_fma_f64 v[146:147], v[56:57], v[142:143], v[184:185]
	v_mul_f64 v[176:177], v[168:169], v[176:177]
	v_add_f64 v[124:125], v[188:189], v[124:125]
	v_fma_f64 v[126:127], v[60:61], v[172:173], v[126:127]
	v_mul_f64 v[134:135], v[134:135], v[154:155]
	v_mul_f64 v[128:129], v[142:143], v[128:129]
	v_fma_f64 v[154:155], v[60:61], v[170:171], -v[164:165]
	v_fma_f64 v[84:85], v[54:55], v[168:169], v[84:85]
	v_add_f64 v[142:143], v[76:77], v[146:147]
	v_fma_f64 v[164:165], v[54:55], v[166:167], -v[176:177]
	v_fma_f64 v[54:55], v[182:183], s[14:15], v[186:187]
	v_fma_f64 v[48:49], v[182:183], s[6:7], v[48:49]
	v_fma_f64 v[132:133], v[42:43], v[132:133], -v[134:135]
	v_fma_f64 v[128:129], v[56:57], v[140:141], -v[128:129]
	v_add_f64 v[124:125], v[124:125], v[190:191]
	v_add_f64 v[60:61], v[126:127], v[84:85]
	v_fma_f64 v[134:135], v[142:143], -0.5, v[178:179]
	v_add_f64 v[140:141], v[154:155], -v[164:165]
	v_fma_f64 v[42:43], v[144:145], s[16:17], v[54:55]
	v_fma_f64 v[56:57], v[144:145], s[16:17], v[48:49]
	v_add_f64 v[48:49], v[126:127], -v[76:77]
	v_add_f64 v[54:55], v[132:133], -v[128:129]
	;; [unrolled: 1-line block ×3, first 2 shown]
	v_fma_f64 v[142:143], v[60:61], -0.5, v[178:179]
	v_add_f64 v[60:61], v[124:125], v[130:131]
	v_fma_f64 v[124:125], v[140:141], s[10:11], v[134:135]
	v_fma_f64 v[130:131], v[140:141], s[4:5], v[134:135]
	v_add_f64 v[134:135], v[132:133], v[128:129]
	v_add_f64 v[166:167], v[76:77], -v[126:127]
	v_add_f64 v[168:169], v[146:147], -v[84:85]
	v_add_f64 v[48:49], v[48:49], v[144:145]
	v_fma_f64 v[170:171], v[54:55], s[4:5], v[142:143]
	v_add_f64 v[144:145], v[76:77], v[178:179]
	v_add_f64 v[172:173], v[126:127], -v[84:85]
	v_fma_f64 v[124:125], v[54:55], s[6:7], v[124:125]
	v_fma_f64 v[134:135], v[134:135], -0.5, v[122:123]
	v_fma_f64 v[130:131], v[54:55], s[14:15], v[130:131]
	v_add_f64 v[166:167], v[166:167], v[168:169]
	v_fma_f64 v[142:143], v[54:55], s[10:11], v[142:143]
	v_fma_f64 v[168:169], v[140:141], s[6:7], v[170:171]
	v_add_f64 v[144:145], v[126:127], v[144:145]
	v_add_f64 v[170:171], v[154:155], v[164:165]
	v_add_f64 v[176:177], v[154:155], -v[132:133]
	v_add_f64 v[178:179], v[164:165], -v[128:129]
	v_fma_f64 v[182:183], v[172:173], s[4:5], v[134:135]
	v_add_f64 v[76:77], v[76:77], -v[146:147]
	v_fma_f64 v[126:127], v[48:49], s[16:17], v[124:125]
	v_fma_f64 v[48:49], v[48:49], s[16:17], v[130:131]
	;; [unrolled: 1-line block ×3, first 2 shown]
	v_fma_f64 v[168:169], v[170:171], -0.5, v[122:123]
	v_fma_f64 v[124:125], v[140:141], s[14:15], v[142:143]
	v_add_f64 v[130:131], v[84:85], v[144:145]
	v_add_f64 v[140:141], v[176:177], v[178:179]
	v_fma_f64 v[142:143], v[76:77], s[14:15], v[182:183]
	v_fma_f64 v[134:135], v[172:173], s[10:11], v[134:135]
	v_add_f64 v[144:145], v[132:133], -v[154:155]
	v_add_f64 v[170:171], v[128:129], -v[164:165]
	v_fma_f64 v[176:177], v[76:77], s[10:11], v[168:169]
	v_fma_f64 v[84:85], v[166:167], s[16:17], v[124:125]
	v_add_f64 v[130:131], v[146:147], v[130:131]
	s_waitcnt vmcnt(3)
	v_mul_f64 v[146:147], v[136:137], v[152:153]
	v_fma_f64 v[124:125], v[140:141], s[16:17], v[142:143]
	s_waitcnt vmcnt(2)
	v_mul_f64 v[142:143], v[148:149], v[82:83]
	v_fma_f64 v[134:135], v[76:77], s[6:7], v[134:135]
	v_add_f64 v[144:145], v[144:145], v[170:171]
	s_waitcnt vmcnt(0)
	v_mul_f64 v[170:171], v[160:161], v[86:87]
	v_fma_f64 v[76:77], v[76:77], s[4:5], v[168:169]
	v_mul_f64 v[168:169], v[156:157], v[174:175]
	v_fma_f64 v[166:167], v[172:173], s[14:15], v[176:177]
	v_fma_f64 v[146:147], v[40:41], v[138:139], v[146:147]
	v_fma_f64 v[176:177], v[46:47], v[150:151], v[142:143]
	v_mul_f64 v[86:87], v[162:163], v[86:87]
	v_mul_f64 v[142:143], v[158:159], v[174:175]
	v_add_f64 v[122:123], v[122:123], v[132:133]
	v_fma_f64 v[132:133], v[50:51], v[162:163], v[170:171]
	v_mul_f64 v[138:139], v[138:139], v[152:153]
	v_mul_f64 v[82:83], v[150:151], v[82:83]
	v_fma_f64 v[150:151], v[52:53], v[158:159], v[168:169]
	v_add_f64 v[152:153], v[146:147], v[176:177]
	v_fma_f64 v[50:51], v[50:51], v[160:161], -v[86:87]
	v_fma_f64 v[86:87], v[52:53], v[156:157], -v[142:143]
	v_add_f64 v[122:123], v[154:155], v[122:123]
	v_fma_f64 v[76:77], v[172:173], s[6:7], v[76:77]
	v_fma_f64 v[40:41], v[40:41], v[136:137], -v[138:139]
	v_fma_f64 v[154:155], v[46:47], v[148:149], -v[82:83]
	v_add_f64 v[82:83], v[132:133], v[150:151]
	v_add_f64 v[136:137], v[132:133], -v[146:147]
	v_fma_f64 v[138:139], v[152:153], -0.5, v[180:181]
	v_add_f64 v[142:143], v[50:51], -v[86:87]
	v_add_f64 v[148:149], v[150:151], -v[176:177]
	v_fma_f64 v[46:47], v[140:141], s[16:17], v[134:135]
	v_fma_f64 v[52:53], v[144:145], s[16:17], v[166:167]
	v_add_f64 v[134:135], v[40:41], -v[154:155]
	v_fma_f64 v[140:141], v[82:83], -0.5, v[180:181]
	v_fma_f64 v[82:83], v[144:145], s[16:17], v[76:77]
	v_add_f64 v[76:77], v[122:123], v[164:165]
	v_fma_f64 v[122:123], v[142:143], s[10:11], v[138:139]
	v_add_f64 v[136:137], v[136:137], v[148:149]
	v_fma_f64 v[138:139], v[142:143], s[4:5], v[138:139]
	v_add_f64 v[144:145], v[146:147], -v[132:133]
	v_add_f64 v[148:149], v[176:177], -v[150:151]
	v_fma_f64 v[152:153], v[134:135], s[4:5], v[140:141]
	v_fma_f64 v[140:141], v[134:135], s[10:11], v[140:141]
	v_add_f64 v[156:157], v[146:147], v[180:181]
	v_add_f64 v[128:129], v[76:77], v[128:129]
	v_fma_f64 v[122:123], v[134:135], s[6:7], v[122:123]
	v_fma_f64 v[76:77], v[134:135], s[14:15], v[138:139]
	v_add_f64 v[138:139], v[40:41], v[154:155]
	v_add_f64 v[144:145], v[144:145], v[148:149]
	;; [unrolled: 4-line block ×3, first 2 shown]
	v_fma_f64 v[122:123], v[136:137], s[16:17], v[122:123]
	v_fma_f64 v[134:135], v[136:137], s[16:17], v[76:77]
	v_fma_f64 v[76:77], v[138:139], -0.5, v[120:121]
	v_add_f64 v[132:133], v[132:133], -v[150:151]
	v_fma_f64 v[138:139], v[144:145], s[16:17], v[148:149]
	v_fma_f64 v[142:143], v[144:145], s[16:17], v[140:141]
	v_add_f64 v[140:141], v[146:147], -v[176:177]
	v_fma_f64 v[144:145], v[156:157], -0.5, v[120:121]
	v_add_f64 v[120:121], v[120:121], v[40:41]
	v_add_f64 v[146:147], v[50:51], -v[40:41]
	v_add_f64 v[40:41], v[40:41], -v[50:51]
	v_add_f64 v[136:137], v[150:151], v[152:153]
	v_add_f64 v[150:151], v[86:87], -v[154:155]
	v_fma_f64 v[152:153], v[132:133], s[4:5], v[76:77]
	v_fma_f64 v[76:77], v[132:133], s[10:11], v[76:77]
	;; [unrolled: 1-line block ×3, first 2 shown]
	v_add_f64 v[50:51], v[50:51], v[120:121]
	v_fma_f64 v[144:145], v[140:141], s[4:5], v[144:145]
	v_add_f64 v[156:157], v[154:155], -v[86:87]
	v_add_f64 v[148:149], v[176:177], v[136:137]
	v_add_f64 v[136:137], v[146:147], v[150:151]
	v_mad_u64_u32 v[150:151], s[0:1], s2, v224, 0
	v_fma_f64 v[76:77], v[140:141], s[6:7], v[76:77]
	v_add_f64 v[50:51], v[50:51], v[86:87]
	v_fma_f64 v[120:121], v[140:141], s[14:15], v[152:153]
	v_fma_f64 v[140:141], v[132:133], s[14:15], v[158:159]
	;; [unrolled: 1-line block ×3, first 2 shown]
	v_add_f64 v[40:41], v[40:41], v[156:157]
	v_add_u32_e32 v86, 0x181, v224
	v_fma_f64 v[132:133], v[136:137], s[16:17], v[76:77]
	v_add_f64 v[146:147], v[50:51], v[154:155]
	buffer_load_dword v50, off, s[40:43], 0 ; 4-byte Folded Reload
	buffer_load_dword v51, off, s[40:43], 0 offset:4 ; 4-byte Folded Reload
	v_mov_b32_e32 v76, v151
	v_mad_u64_u32 v[76:77], s[0:1], s3, v224, v[76:77]
	v_fma_f64 v[120:121], v[136:137], s[16:17], v[120:121]
	v_fma_f64 v[136:137], v[40:41], s[16:17], v[140:141]
	v_mov_b32_e32 v151, v76
	v_mad_u64_u32 v[76:77], s[0:1], s2, v86, 0
	v_fma_f64 v[140:141], v[40:41], s[16:17], v[144:145]
	v_mov_b32_e32 v41, s13
	v_mad_u64_u32 v[86:87], s[0:1], s3, v86, v[77:78]
	v_add_u32_e32 v87, 0x302, v224
	v_mad_u64_u32 v[144:145], s[0:1], s2, v87, 0
	v_mov_b32_e32 v77, v86
	v_add_u32_e32 v86, 0x483, v224
	s_waitcnt vmcnt(1)
	v_add_co_u32_e32 v40, vcc, s12, v50
	s_waitcnt vmcnt(0)
	v_addc_co_u32_e32 v41, vcc, v41, v51, vcc
	v_lshlrev_b64 v[50:51], 4, v[150:151]
	v_add_co_u32_e32 v50, vcc, v40, v50
	v_addc_co_u32_e32 v51, vcc, v41, v51, vcc
	global_store_dwordx4 v[50:51], v[146:149], off
	v_lshlrev_b64 v[50:51], 4, v[76:77]
	v_mov_b32_e32 v76, v145
	v_mad_u64_u32 v[76:77], s[0:1], s3, v87, v[76:77]
	v_add_co_u32_e32 v50, vcc, v40, v50
	v_mov_b32_e32 v145, v76
	v_mad_u64_u32 v[76:77], s[0:1], s2, v86, 0
	v_addc_co_u32_e32 v51, vcc, v41, v51, vcc
	v_mad_u64_u32 v[86:87], s[0:1], s3, v86, v[77:78]
	v_add_u32_e32 v87, 0x604, v224
	global_store_dwordx4 v[50:51], v[140:143], off
	v_lshlrev_b64 v[50:51], 4, v[144:145]
	v_mad_u64_u32 v[140:141], s[0:1], s2, v87, 0
	v_add_co_u32_e32 v50, vcc, v40, v50
	v_addc_co_u32_e32 v51, vcc, v41, v51, vcc
	v_mov_b32_e32 v77, v86
	global_store_dwordx4 v[50:51], v[132:135], off
	v_lshlrev_b64 v[50:51], 4, v[76:77]
	v_mov_b32_e32 v76, v141
	v_mad_u64_u32 v[76:77], s[0:1], s3, v87, v[76:77]
	v_add_u32_e32 v86, 55, v224
	v_add_co_u32_e32 v50, vcc, v40, v50
	v_mov_b32_e32 v141, v76
	v_mad_u64_u32 v[76:77], s[4:5], s2, v86, 0
	v_addc_co_u32_e32 v51, vcc, v41, v51, vcc
	v_mad_u64_u32 v[86:87], s[4:5], s3, v86, v[77:78]
	v_add_u32_e32 v87, 0x1b8, v224
	global_store_dwordx4 v[50:51], v[120:123], off
	v_lshlrev_b64 v[50:51], 4, v[140:141]
	v_mad_u64_u32 v[120:121], s[4:5], s2, v87, 0
	v_add_co_u32_e32 v50, vcc, v40, v50
	v_addc_co_u32_e32 v51, vcc, v41, v51, vcc
	v_mov_b32_e32 v77, v86
	global_store_dwordx4 v[50:51], v[136:139], off
	v_lshlrev_b64 v[50:51], 4, v[76:77]
	v_mov_b32_e32 v76, v121
	v_mad_u64_u32 v[76:77], s[4:5], s3, v87, v[76:77]
	v_add_u32_e32 v86, 0x339, v224
	v_add_co_u32_e32 v50, vcc, v40, v50
	v_mov_b32_e32 v121, v76
	v_mad_u64_u32 v[76:77], s[4:5], s2, v86, 0
	v_addc_co_u32_e32 v51, vcc, v41, v51, vcc
	v_mad_u64_u32 v[86:87], s[4:5], s3, v86, v[77:78]
	global_store_dwordx4 v[50:51], v[128:131], off
	v_lshlrev_b64 v[50:51], 4, v[120:121]
	v_add_u32_e32 v87, 0x4ba, v224
	v_add_co_u32_e32 v50, vcc, v40, v50
	v_addc_co_u32_e32 v51, vcc, v41, v51, vcc
	v_mov_b32_e32 v77, v86
	v_mad_u64_u32 v[120:121], s[4:5], s2, v87, 0
	global_store_dwordx4 v[50:51], v[82:85], off
	v_lshlrev_b64 v[50:51], 4, v[76:77]
	v_mov_b32_e32 v76, v121
	v_add_co_u32_e32 v50, vcc, v40, v50
	v_addc_co_u32_e32 v51, vcc, v41, v51, vcc
	global_store_dwordx4 v[50:51], v[46:49], off
	v_add_u32_e32 v50, 0x63b, v224
	v_mad_u64_u32 v[76:77], s[4:5], s3, v87, v[76:77]
	v_mad_u64_u32 v[48:49], s[4:5], s2, v50, 0
	v_mov_b32_e32 v121, v76
	v_add_u32_e32 v76, 0x6e, v224
	v_mad_u64_u32 v[49:50], s[4:5], s3, v50, v[49:50]
	v_lshlrev_b64 v[46:47], 4, v[120:121]
	v_mad_u64_u32 v[50:51], s[4:5], s2, v76, 0
	v_add_co_u32_e32 v46, vcc, v40, v46
	v_addc_co_u32_e32 v47, vcc, v41, v47, vcc
	global_store_dwordx4 v[46:47], v[124:127], off
	v_lshlrev_b64 v[46:47], 4, v[48:49]
	v_mov_b32_e32 v48, v51
	v_mad_u64_u32 v[48:49], s[4:5], s3, v76, v[48:49]
	v_add_co_u32_e32 v46, vcc, v40, v46
	v_addc_co_u32_e32 v47, vcc, v41, v47, vcc
	v_mov_b32_e32 v51, v48
	global_store_dwordx4 v[46:47], v[52:55], off
	v_lshlrev_b64 v[46:47], 4, v[50:51]
	v_add_u32_e32 v50, 0x1ef, v224
	v_mad_u64_u32 v[48:49], s[4:5], s2, v50, 0
	v_add_u32_e32 v52, 0x370, v224
	v_add_co_u32_e32 v46, vcc, v40, v46
	v_mad_u64_u32 v[49:50], s[4:5], s3, v50, v[49:50]
	v_mad_u64_u32 v[50:51], s[4:5], s2, v52, 0
	v_addc_co_u32_e32 v47, vcc, v41, v47, vcc
	global_store_dwordx4 v[46:47], v[60:63], off
	v_lshlrev_b64 v[46:47], 4, v[48:49]
	v_mov_b32_e32 v48, v51
	v_mad_u64_u32 v[48:49], s[4:5], s3, v52, v[48:49]
	v_add_co_u32_e32 v46, vcc, v40, v46
	v_addc_co_u32_e32 v47, vcc, v41, v47, vcc
	v_mov_b32_e32 v51, v48
	global_store_dwordx4 v[46:47], v[56:59], off
	v_lshlrev_b64 v[46:47], 4, v[50:51]
	v_add_u32_e32 v50, 0x4f1, v224
	v_mad_u64_u32 v[48:49], s[4:5], s2, v50, 0
	v_add_u32_e32 v52, 0x672, v224
	v_add_co_u32_e32 v46, vcc, v40, v46
	v_mad_u64_u32 v[49:50], s[4:5], s3, v50, v[49:50]
	v_mad_u64_u32 v[50:51], s[4:5], s2, v52, 0
	;; [unrolled: 16-line block ×3, first 2 shown]
	v_addc_co_u32_e32 v47, vcc, v41, v47, vcc
	global_store_dwordx4 v[46:47], v[42:45], off
	v_add_u32_e32 v46, 0x3a7, v224
	v_mov_b32_e32 v44, v51
	v_mad_u64_u32 v[44:45], s[4:5], s3, v52, v[44:45]
	v_lshlrev_b64 v[42:43], 4, v[48:49]
	v_add_u32_e32 v48, 0x528, v224
	v_mov_b32_e32 v51, v44
	v_mad_u64_u32 v[44:45], s[4:5], s2, v46, 0
	v_add_co_u32_e32 v42, vcc, v40, v42
	v_addc_co_u32_e32 v43, vcc, v41, v43, vcc
	v_mad_u64_u32 v[45:46], s[4:5], s3, v46, v[45:46]
	global_store_dwordx4 v[42:43], v[108:111], off
	v_lshlrev_b64 v[42:43], 4, v[50:51]
	v_mad_u64_u32 v[46:47], s[4:5], s2, v48, 0
	v_add_co_u32_e32 v42, vcc, v40, v42
	v_addc_co_u32_e32 v43, vcc, v41, v43, vcc
	global_store_dwordx4 v[42:43], v[104:107], off
	v_lshlrev_b64 v[42:43], 4, v[44:45]
	v_mov_b32_e32 v44, v47
	v_mad_u64_u32 v[44:45], s[4:5], s3, v48, v[44:45]
	v_add_co_u32_e32 v42, vcc, v40, v42
	v_addc_co_u32_e32 v43, vcc, v41, v43, vcc
	v_mov_b32_e32 v47, v44
	global_store_dwordx4 v[42:43], v[68:71], off
	v_lshlrev_b64 v[42:43], 4, v[46:47]
	v_add_u32_e32 v46, 0x6a9, v224
	v_mad_u64_u32 v[44:45], s[4:5], s2, v46, 0
	v_add_u32_e32 v47, 0xdc, v224
	s_mov_b32 s1, 0x551c979b
	v_mul_hi_u32 v48, v47, s1
	v_mad_u64_u32 v[45:46], s[4:5], s3, v46, v[45:46]
	s_movk_i32 s0, 0x604
	v_lshrrev_b32_e32 v46, 7, v48
	v_mad_u32_u24 v48, v46, s0, v47
	v_mad_u64_u32 v[46:47], s[4:5], s2, v48, 0
	v_add_co_u32_e32 v42, vcc, v40, v42
	v_addc_co_u32_e32 v43, vcc, v41, v43, vcc
	global_store_dwordx4 v[42:43], v[100:103], off
	v_lshlrev_b64 v[42:43], 4, v[44:45]
	v_mov_b32_e32 v44, v47
	v_mad_u64_u32 v[44:45], s[4:5], s3, v48, v[44:45]
	v_add_co_u32_e32 v42, vcc, v40, v42
	v_addc_co_u32_e32 v43, vcc, v41, v43, vcc
	v_mov_b32_e32 v47, v44
	global_store_dwordx4 v[42:43], v[64:67], off
	v_lshlrev_b64 v[42:43], 4, v[46:47]
	v_add_u32_e32 v46, 0x181, v48
	v_mad_u64_u32 v[44:45], s[4:5], s2, v46, 0
	v_add_u32_e32 v49, 0x302, v48
	v_add_co_u32_e32 v42, vcc, v40, v42
	v_mad_u64_u32 v[45:46], s[4:5], s3, v46, v[45:46]
	v_mad_u64_u32 v[46:47], s[4:5], s2, v49, 0
	v_addc_co_u32_e32 v43, vcc, v41, v43, vcc
	global_store_dwordx4 v[42:43], v[96:99], off
	v_lshlrev_b64 v[42:43], 4, v[44:45]
	v_mov_b32_e32 v44, v47
	v_mad_u64_u32 v[44:45], s[4:5], s3, v49, v[44:45]
	v_add_co_u32_e32 v42, vcc, v40, v42
	v_addc_co_u32_e32 v43, vcc, v41, v43, vcc
	v_mov_b32_e32 v47, v44
	global_store_dwordx4 v[42:43], v[92:95], off
	v_lshlrev_b64 v[42:43], 4, v[46:47]
	v_add_u32_e32 v46, 0x483, v48
	v_mad_u64_u32 v[44:45], s[4:5], s2, v46, 0
	v_add_u32_e32 v48, 0x604, v48
	v_add_co_u32_e32 v42, vcc, v40, v42
	v_mad_u64_u32 v[45:46], s[4:5], s3, v46, v[45:46]
	v_mad_u64_u32 v[46:47], s[4:5], s2, v48, 0
	v_addc_co_u32_e32 v43, vcc, v41, v43, vcc
	global_store_dwordx4 v[42:43], v[88:91], off
	v_lshlrev_b64 v[42:43], 4, v[44:45]
	v_mov_b32_e32 v44, v47
	v_mad_u64_u32 v[44:45], s[4:5], s3, v48, v[44:45]
	v_add_co_u32_e32 v42, vcc, v40, v42
	v_mov_b32_e32 v47, v44
	v_mad_u64_u32 v[44:45], s[4:5], s2, v193, 0
	v_addc_co_u32_e32 v43, vcc, v41, v43, vcc
	global_store_dwordx4 v[42:43], v[78:81], off
	v_lshlrev_b64 v[42:43], 4, v[46:47]
	v_mad_u64_u32 v[45:46], s[4:5], s3, v193, v[45:46]
	v_add_co_u32_e32 v42, vcc, v40, v42
	v_addc_co_u32_e32 v43, vcc, v41, v43, vcc
	v_add_u32_e32 v48, 0x294, v224
	v_mad_u64_u32 v[46:47], s[4:5], s2, v48, 0
	global_store_dwordx4 v[42:43], v[72:75], off
	v_lshlrev_b64 v[42:43], 4, v[44:45]
	v_mov_b32_e32 v44, v47
	v_add_co_u32_e32 v42, vcc, v40, v42
	v_addc_co_u32_e32 v43, vcc, v41, v43, vcc
	global_store_dwordx4 v[42:43], v[36:39], off
	v_add_u32_e32 v42, 0x415, v224
	v_mad_u64_u32 v[44:45], s[4:5], s3, v48, v[44:45]
	v_mad_u64_u32 v[38:39], s[4:5], s2, v42, 0
	v_mov_b32_e32 v47, v44
	v_lshlrev_b64 v[36:37], 4, v[46:47]
	v_mad_u64_u32 v[42:43], s[4:5], s3, v42, v[39:40]
	v_add_co_u32_e32 v36, vcc, v40, v36
	v_addc_co_u32_e32 v37, vcc, v41, v37, vcc
	v_mov_b32_e32 v39, v42
	global_store_dwordx4 v[36:37], v[32:35], off
	v_add_u32_e32 v45, 0x596, v224
	v_lshlrev_b64 v[32:33], 4, v[38:39]
	v_mad_u64_u32 v[43:44], s[4:5], s2, v45, 0
	v_add_co_u32_e32 v32, vcc, v40, v32
	v_addc_co_u32_e32 v33, vcc, v41, v33, vcc
	global_store_dwordx4 v[32:33], v[28:31], off
	v_add_u32_e32 v32, 0x717, v224
	v_mad_u64_u32 v[30:31], s[4:5], s2, v32, 0
	v_mov_b32_e32 v34, v44
	v_mul_hi_u32 v33, v192, s1
	v_mad_u64_u32 v[34:35], s[4:5], s3, v45, v[34:35]
	v_mad_u64_u32 v[31:32], s[4:5], s3, v32, v[31:32]
	v_lshrrev_b32_e32 v32, 7, v33
	v_mov_b32_e32 v44, v34
	v_mad_u32_u24 v34, v32, s0, v192
	v_lshlrev_b64 v[28:29], 4, v[43:44]
	v_mad_u64_u32 v[32:33], s[0:1], s2, v34, 0
	v_add_co_u32_e32 v28, vcc, v40, v28
	v_addc_co_u32_e32 v29, vcc, v41, v29, vcc
	global_store_dwordx4 v[28:29], v[20:23], off
	s_nop 0
	v_lshlrev_b64 v[20:21], 4, v[30:31]
	v_mov_b32_e32 v22, v33
	v_mad_u64_u32 v[22:23], s[0:1], s3, v34, v[22:23]
	v_add_co_u32_e32 v20, vcc, v40, v20
	v_addc_co_u32_e32 v21, vcc, v41, v21, vcc
	global_store_dwordx4 v[20:21], v[24:27], off
	v_mov_b32_e32 v33, v22
	v_add_u32_e32 v24, 0x181, v34
	v_mad_u64_u32 v[22:23], s[0:1], s2, v24, 0
	v_lshlrev_b64 v[20:21], 4, v[32:33]
	v_add_u32_e32 v26, 0x302, v34
	v_mad_u64_u32 v[23:24], s[0:1], s3, v24, v[23:24]
	v_add_co_u32_e32 v20, vcc, v40, v20
	v_addc_co_u32_e32 v21, vcc, v41, v21, vcc
	v_mad_u64_u32 v[24:25], s[0:1], s2, v26, 0
	global_store_dwordx4 v[20:21], v[16:19], off
	s_nop 0
	v_lshlrev_b64 v[16:17], 4, v[22:23]
	v_mov_b32_e32 v18, v25
	v_add_co_u32_e32 v16, vcc, v40, v16
	v_addc_co_u32_e32 v17, vcc, v41, v17, vcc
	global_store_dwordx4 v[16:17], v[12:15], off
	v_add_u32_e32 v16, 0x483, v34
	v_mad_u64_u32 v[18:19], s[0:1], s3, v26, v[18:19]
	v_mad_u64_u32 v[14:15], s[0:1], s2, v16, 0
	v_mov_b32_e32 v25, v18
	v_add_u32_e32 v18, 0x604, v34
	v_mad_u64_u32 v[15:16], s[0:1], s3, v16, v[15:16]
	v_lshlrev_b64 v[12:13], 4, v[24:25]
	v_mad_u64_u32 v[16:17], s[0:1], s2, v18, 0
	v_add_co_u32_e32 v12, vcc, v40, v12
	v_addc_co_u32_e32 v13, vcc, v41, v13, vcc
	global_store_dwordx4 v[12:13], v[8:11], off
	s_nop 0
	v_mov_b32_e32 v10, v17
	v_mad_u64_u32 v[10:11], s[0:1], s3, v18, v[10:11]
	v_lshlrev_b64 v[8:9], 4, v[14:15]
	v_add_co_u32_e32 v8, vcc, v40, v8
	v_addc_co_u32_e32 v9, vcc, v41, v9, vcc
	v_mov_b32_e32 v17, v10
	global_store_dwordx4 v[8:9], v[4:7], off
	s_nop 0
	v_lshlrev_b64 v[4:5], 4, v[16:17]
	v_add_co_u32_e32 v4, vcc, v40, v4
	v_addc_co_u32_e32 v5, vcc, v41, v5, vcc
	global_store_dwordx4 v[4:5], v[0:3], off
.LBB0_23:
	s_endpgm
	.section	.rodata,"a",@progbits
	.p2align	6, 0x0
	.amdhsa_kernel fft_rtc_fwd_len1925_factors_7_11_5_5_wgs_55_tpt_55_halfLds_dp_ip_CI_sbrr_dirReg
		.amdhsa_group_segment_fixed_size 0
		.amdhsa_private_segment_fixed_size 36
		.amdhsa_kernarg_size 88
		.amdhsa_user_sgpr_count 6
		.amdhsa_user_sgpr_private_segment_buffer 1
		.amdhsa_user_sgpr_dispatch_ptr 0
		.amdhsa_user_sgpr_queue_ptr 0
		.amdhsa_user_sgpr_kernarg_segment_ptr 1
		.amdhsa_user_sgpr_dispatch_id 0
		.amdhsa_user_sgpr_flat_scratch_init 0
		.amdhsa_user_sgpr_private_segment_size 0
		.amdhsa_uses_dynamic_stack 0
		.amdhsa_system_sgpr_private_segment_wavefront_offset 1
		.amdhsa_system_sgpr_workgroup_id_x 1
		.amdhsa_system_sgpr_workgroup_id_y 0
		.amdhsa_system_sgpr_workgroup_id_z 0
		.amdhsa_system_sgpr_workgroup_info 0
		.amdhsa_system_vgpr_workitem_id 0
		.amdhsa_next_free_vgpr 256
		.amdhsa_next_free_sgpr 44
		.amdhsa_reserve_vcc 1
		.amdhsa_reserve_flat_scratch 0
		.amdhsa_float_round_mode_32 0
		.amdhsa_float_round_mode_16_64 0
		.amdhsa_float_denorm_mode_32 3
		.amdhsa_float_denorm_mode_16_64 3
		.amdhsa_dx10_clamp 1
		.amdhsa_ieee_mode 1
		.amdhsa_fp16_overflow 0
		.amdhsa_exception_fp_ieee_invalid_op 0
		.amdhsa_exception_fp_denorm_src 0
		.amdhsa_exception_fp_ieee_div_zero 0
		.amdhsa_exception_fp_ieee_overflow 0
		.amdhsa_exception_fp_ieee_underflow 0
		.amdhsa_exception_fp_ieee_inexact 0
		.amdhsa_exception_int_div_zero 0
	.end_amdhsa_kernel
	.text
.Lfunc_end0:
	.size	fft_rtc_fwd_len1925_factors_7_11_5_5_wgs_55_tpt_55_halfLds_dp_ip_CI_sbrr_dirReg, .Lfunc_end0-fft_rtc_fwd_len1925_factors_7_11_5_5_wgs_55_tpt_55_halfLds_dp_ip_CI_sbrr_dirReg
                                        ; -- End function
	.section	.AMDGPU.csdata,"",@progbits
; Kernel info:
; codeLenInByte = 32744
; NumSgprs: 48
; NumVgprs: 256
; ScratchSize: 36
; MemoryBound: 1
; FloatMode: 240
; IeeeMode: 1
; LDSByteSize: 0 bytes/workgroup (compile time only)
; SGPRBlocks: 5
; VGPRBlocks: 63
; NumSGPRsForWavesPerEU: 48
; NumVGPRsForWavesPerEU: 256
; Occupancy: 1
; WaveLimiterHint : 1
; COMPUTE_PGM_RSRC2:SCRATCH_EN: 1
; COMPUTE_PGM_RSRC2:USER_SGPR: 6
; COMPUTE_PGM_RSRC2:TRAP_HANDLER: 0
; COMPUTE_PGM_RSRC2:TGID_X_EN: 1
; COMPUTE_PGM_RSRC2:TGID_Y_EN: 0
; COMPUTE_PGM_RSRC2:TGID_Z_EN: 0
; COMPUTE_PGM_RSRC2:TIDIG_COMP_CNT: 0
	.type	__hip_cuid_5aaa73b6c29c9c14,@object ; @__hip_cuid_5aaa73b6c29c9c14
	.section	.bss,"aw",@nobits
	.globl	__hip_cuid_5aaa73b6c29c9c14
__hip_cuid_5aaa73b6c29c9c14:
	.byte	0                               ; 0x0
	.size	__hip_cuid_5aaa73b6c29c9c14, 1

	.ident	"AMD clang version 19.0.0git (https://github.com/RadeonOpenCompute/llvm-project roc-6.4.0 25133 c7fe45cf4b819c5991fe208aaa96edf142730f1d)"
	.section	".note.GNU-stack","",@progbits
	.addrsig
	.addrsig_sym __hip_cuid_5aaa73b6c29c9c14
	.amdgpu_metadata
---
amdhsa.kernels:
  - .args:
      - .actual_access:  read_only
        .address_space:  global
        .offset:         0
        .size:           8
        .value_kind:     global_buffer
      - .offset:         8
        .size:           8
        .value_kind:     by_value
      - .actual_access:  read_only
        .address_space:  global
        .offset:         16
        .size:           8
        .value_kind:     global_buffer
      - .actual_access:  read_only
        .address_space:  global
        .offset:         24
        .size:           8
        .value_kind:     global_buffer
      - .offset:         32
        .size:           8
        .value_kind:     by_value
      - .actual_access:  read_only
        .address_space:  global
        .offset:         40
        .size:           8
        .value_kind:     global_buffer
      - .actual_access:  read_only
        .address_space:  global
        .offset:         48
        .size:           8
        .value_kind:     global_buffer
      - .offset:         56
        .size:           4
        .value_kind:     by_value
      - .actual_access:  read_only
        .address_space:  global
        .offset:         64
        .size:           8
        .value_kind:     global_buffer
      - .actual_access:  read_only
        .address_space:  global
        .offset:         72
        .size:           8
        .value_kind:     global_buffer
      - .address_space:  global
        .offset:         80
        .size:           8
        .value_kind:     global_buffer
    .group_segment_fixed_size: 0
    .kernarg_segment_align: 8
    .kernarg_segment_size: 88
    .language:       OpenCL C
    .language_version:
      - 2
      - 0
    .max_flat_workgroup_size: 55
    .name:           fft_rtc_fwd_len1925_factors_7_11_5_5_wgs_55_tpt_55_halfLds_dp_ip_CI_sbrr_dirReg
    .private_segment_fixed_size: 36
    .sgpr_count:     48
    .sgpr_spill_count: 0
    .symbol:         fft_rtc_fwd_len1925_factors_7_11_5_5_wgs_55_tpt_55_halfLds_dp_ip_CI_sbrr_dirReg.kd
    .uniform_work_group_size: 1
    .uses_dynamic_stack: false
    .vgpr_count:     256
    .vgpr_spill_count: 11
    .wavefront_size: 64
amdhsa.target:   amdgcn-amd-amdhsa--gfx906
amdhsa.version:
  - 1
  - 2
...

	.end_amdgpu_metadata
